;; amdgpu-corpus repo=ROCm/rocFFT kind=compiled arch=gfx1100 opt=O3
	.text
	.amdgcn_target "amdgcn-amd-amdhsa--gfx1100"
	.amdhsa_code_object_version 6
	.protected	bluestein_single_back_len1440_dim1_dp_op_CI_CI ; -- Begin function bluestein_single_back_len1440_dim1_dp_op_CI_CI
	.globl	bluestein_single_back_len1440_dim1_dp_op_CI_CI
	.p2align	8
	.type	bluestein_single_back_len1440_dim1_dp_op_CI_CI,@function
bluestein_single_back_len1440_dim1_dp_op_CI_CI: ; @bluestein_single_back_len1440_dim1_dp_op_CI_CI
; %bb.0:
	s_load_b128 s[16:19], s[0:1], 0x28
	v_mul_u32_u24_e32 v1, 0x2d9, v0
	s_mov_b32 s2, exec_lo
	v_mov_b32_e32 v7, 0
	s_delay_alu instid0(VALU_DEP_2) | instskip(NEXT) | instid1(VALU_DEP_1)
	v_lshrrev_b32_e32 v1, 16, v1
	v_add_nc_u32_e32 v6, s15, v1
	s_waitcnt lgkmcnt(0)
	s_delay_alu instid0(VALU_DEP_1)
	v_cmpx_gt_u64_e64 s[16:17], v[6:7]
	s_cbranch_execz .LBB0_31
; %bb.1:
	s_clause 0x1
	s_load_b128 s[4:7], s[0:1], 0x18
	s_load_b64 s[12:13], s[0:1], 0x0
	v_mul_lo_u16 v1, 0x5a, v1
	v_mov_b32_e32 v4, v6
	s_delay_alu instid0(VALU_DEP_2)
	v_sub_nc_u16 v84, v0, v1
	scratch_store_b64 off, v[4:5], off offset:16 ; 8-byte Folded Spill
	v_and_b32_e32 v22, 0xffff, v84
	s_waitcnt lgkmcnt(0)
	s_load_b128 s[8:11], s[4:5], 0x0
	s_waitcnt lgkmcnt(0)
	v_mad_u64_u32 v[0:1], null, s10, v6, 0
	v_mad_u64_u32 v[2:3], null, s8, v22, 0
	s_mul_i32 s3, s9, 0x90
	s_mul_hi_u32 s4, s8, 0x90
	s_delay_alu instid0(SALU_CYCLE_1) | instskip(NEXT) | instid1(VALU_DEP_1)
	s_add_i32 s3, s4, s3
	v_mad_u64_u32 v[4:5], null, s11, v6, v[1:2]
	s_delay_alu instid0(VALU_DEP_1) | instskip(NEXT) | instid1(VALU_DEP_3)
	v_mov_b32_e32 v1, v4
	v_mad_u64_u32 v[5:6], null, s9, v22, v[3:4]
	v_lshlrev_b32_e32 v132, 4, v22
	v_or_b32_e32 v12, 0x480, v22
	s_delay_alu instid0(VALU_DEP_4) | instskip(NEXT) | instid1(VALU_DEP_4)
	v_lshlrev_b64 v[0:1], 4, v[0:1]
	v_mov_b32_e32 v3, v5
	s_delay_alu instid0(VALU_DEP_4) | instskip(NEXT) | instid1(VALU_DEP_3)
	v_add_co_u32 v8, s2, s12, v132
	v_add_co_u32 v6, vcc_lo, s18, v0
	s_delay_alu instid0(VALU_DEP_3) | instskip(SKIP_3) | instid1(VALU_DEP_3)
	v_lshlrev_b64 v[2:3], 4, v[2:3]
	v_add_co_ci_u32_e32 v7, vcc_lo, s19, v1, vcc_lo
	v_add_co_ci_u32_e64 v9, null, s13, 0, s2
	s_mul_i32 s2, s8, 0x90
	v_add_co_u32 v2, vcc_lo, v6, v2
	s_delay_alu instid0(VALU_DEP_3) | instskip(SKIP_2) | instid1(VALU_DEP_3)
	v_add_co_ci_u32_e32 v3, vcc_lo, v7, v3, vcc_lo
	s_lshl_b64 s[14:15], s[2:3], 4
	v_mad_u64_u32 v[0:1], null, s8, v12, 0
	v_add_co_u32 v10, vcc_lo, v2, s14
	s_delay_alu instid0(VALU_DEP_3) | instskip(SKIP_1) | instid1(VALU_DEP_3)
	v_add_co_ci_u32_e32 v11, vcc_lo, s15, v3, vcc_lo
	v_lshlrev_b32_e32 v35, 4, v12
	v_add_co_u32 v14, vcc_lo, v10, s14
	s_delay_alu instid0(VALU_DEP_3) | instskip(SKIP_2) | instid1(VALU_DEP_4)
	v_add_co_ci_u32_e32 v15, vcc_lo, s15, v11, vcc_lo
	v_add_co_u32 v20, vcc_lo, 0x1000, v8
	v_add_co_ci_u32_e32 v21, vcc_lo, 0, v9, vcc_lo
	v_add_co_u32 v18, vcc_lo, v14, s14
	s_delay_alu instid0(VALU_DEP_4) | instskip(SKIP_1) | instid1(VALU_DEP_3)
	v_add_co_ci_u32_e32 v19, vcc_lo, s15, v15, vcc_lo
	v_mad_u64_u32 v[4:5], null, s9, v12, v[1:2]
	v_add_co_u32 v23, vcc_lo, v18, s14
	s_delay_alu instid0(VALU_DEP_3)
	v_add_co_ci_u32_e32 v24, vcc_lo, s15, v19, vcc_lo
	s_clause 0x1
	global_load_b128 v[89:92], v132, s[12:13]
	global_load_b128 v[85:88], v132, s[12:13] offset:2304
	v_add_co_u32 v27, vcc_lo, v23, s14
	v_add_co_ci_u32_e32 v28, vcc_lo, s15, v24, vcc_lo
	v_add_co_u32 v29, vcc_lo, 0x2000, v8
	v_add_co_ci_u32_e32 v30, vcc_lo, 0, v9, vcc_lo
	s_delay_alu instid0(VALU_DEP_4) | instskip(NEXT) | instid1(VALU_DEP_4)
	v_add_co_u32 v31, vcc_lo, v27, s14
	v_add_co_ci_u32_e32 v32, vcc_lo, s15, v28, vcc_lo
	v_mov_b32_e32 v1, v4
	s_delay_alu instid0(VALU_DEP_3) | instskip(NEXT) | instid1(VALU_DEP_3)
	v_add_co_u32 v36, vcc_lo, v31, s14
	v_add_co_ci_u32_e32 v37, vcc_lo, s15, v32, vcc_lo
	v_add_co_u32 v42, vcc_lo, 0x3000, v8
	s_delay_alu instid0(VALU_DEP_4) | instskip(SKIP_3) | instid1(VALU_DEP_4)
	v_lshlrev_b64 v[4:5], 4, v[0:1]
	v_add_co_ci_u32_e32 v43, vcc_lo, 0, v9, vcc_lo
	v_add_co_u32 v40, vcc_lo, 0x5000, v8
	v_add_co_ci_u32_e32 v41, vcc_lo, 0, v9, vcc_lo
	v_add_co_u32 v6, vcc_lo, v6, v4
	v_add_co_ci_u32_e32 v7, vcc_lo, v7, v5, vcc_lo
	s_clause 0x1
	scratch_store_b32 off, v12, off offset:48
	scratch_store_b64 off, v[8:9], off
	s_clause 0x1
	global_load_b128 v[105:108], v[20:21], off offset:512
	global_load_b128 v[93:96], v35, s[12:13]
	s_clause 0x3
	global_load_b128 v[2:5], v[2:3], off
	global_load_b128 v[6:9], v[6:7], off
	;; [unrolled: 1-line block ×4, first 2 shown]
	v_mad_u64_u32 v[0:1], null, 0x1200, s8, v[36:37]
	scratch_store_b64 off, v[20:21], off offset:40 ; 8-byte Folded Spill
	s_clause 0x1
	global_load_b128 v[121:124], v[20:21], off offset:2816
	global_load_b128 v[117:120], v[29:30], off offset:1024
	s_clause 0x1
	global_load_b128 v[18:21], v[18:19], off
	global_load_b128 v[23:26], v[23:24], off
	scratch_store_b64 off, v[29:30], off offset:32 ; 8-byte Folded Spill
	s_clause 0x1
	global_load_b128 v[109:112], v[29:30], off offset:3328
	global_load_b128 v[97:100], v[42:43], off offset:1536
	global_load_b128 v[27:30], v[27:28], off
	s_mov_b32 s2, 0
	v_cmp_gt_u16_e32 vcc_lo, 54, v84
	s_waitcnt vmcnt(10)
	v_mad_u64_u32 v[33:34], null, 0x1200, s9, v[1:2]
	v_mul_f64 v[44:45], v[4:5], v[91:92]
	v_mul_f64 v[46:47], v[2:3], v[91:92]
	s_waitcnt vmcnt(8)
	v_mul_f64 v[52:53], v[12:13], v[87:88]
	v_mul_f64 v[54:55], v[10:11], v[87:88]
	;; [unrolled: 1-line block ×3, first 2 shown]
	s_waitcnt vmcnt(3)
	v_mul_f64 v[64:65], v[25:26], v[119:120]
	v_mov_b32_e32 v1, v33
	global_load_b128 v[31:34], v[31:32], off
	global_load_b128 v[36:39], v[36:37], off
	global_load_b128 v[113:116], v[42:43], off offset:3840
	s_clause 0x1
	scratch_store_b64 off, v[42:43], off offset:24
	scratch_store_b64 off, v[40:41], off offset:8
	global_load_b128 v[101:104], v[40:41], off offset:256
	global_load_b128 v[40:43], v[0:1], off
	v_mul_f64 v[66:67], v[23:24], v[119:120]
	s_waitcnt vmcnt(5)
	v_mul_f64 v[68:69], v[29:30], v[111:112]
	v_mul_f64 v[70:71], v[27:28], v[111:112]
	;; [unrolled: 1-line block ×7, first 2 shown]
	s_clause 0x7
	scratch_store_b128 off, v[89:92], off offset:68
	scratch_store_b128 off, v[85:88], off offset:52
	;; [unrolled: 1-line block ×8, first 2 shown]
	v_fma_f64 v[2:3], v[2:3], v[89:90], v[44:45]
	v_fma_f64 v[4:5], v[4:5], v[89:90], -v[46:47]
	v_fma_f64 v[10:11], v[10:11], v[85:86], v[52:53]
	v_fma_f64 v[12:13], v[12:13], v[85:86], -v[54:55]
	v_fma_f64 v[6:7], v[6:7], v[93:94], v[48:49]
	v_fma_f64 v[44:45], v[23:24], v[117:118], v[64:65]
	v_mov_b32_e32 v23, s2
	v_fma_f64 v[46:47], v[25:26], v[117:118], -v[66:67]
	v_fma_f64 v[24:25], v[27:28], v[109:110], v[68:69]
	v_fma_f64 v[26:27], v[29:30], v[109:110], -v[70:71]
	v_fma_f64 v[8:9], v[8:9], v[93:94], -v[50:51]
	v_fma_f64 v[14:15], v[14:15], v[105:106], v[56:57]
	v_fma_f64 v[16:17], v[16:17], v[105:106], -v[58:59]
	v_fma_f64 v[18:19], v[18:19], v[121:122], v[60:61]
	v_fma_f64 v[20:21], v[20:21], v[121:122], -v[62:63]
	s_waitcnt vmcnt(4)
	v_mul_f64 v[72:73], v[33:34], v[99:100]
	v_mul_f64 v[74:75], v[31:32], v[99:100]
	s_waitcnt vmcnt(2)
	scratch_store_b128 off, v[113:116], off offset:164 ; 16-byte Folded Spill
	v_mul_f64 v[76:77], v[38:39], v[115:116]
	v_mul_f64 v[78:79], v[36:37], v[115:116]
	s_waitcnt vmcnt(0)
	v_mul_f64 v[80:81], v[42:43], v[103:104]
	v_mul_f64 v[82:83], v[40:41], v[103:104]
	scratch_store_b128 off, v[101:104], off offset:116 ; 16-byte Folded Spill
	s_load_b64 s[10:11], s[0:1], 0x38
	s_load_b128 s[4:7], s[6:7], 0x0
	ds_store_b128 v132, v[2:5]
	ds_store_b128 v132, v[10:13] offset:2304
	ds_store_b128 v132, v[14:17] offset:4608
	;; [unrolled: 1-line block ×5, first 2 shown]
	v_fma_f64 v[28:29], v[31:32], v[97:98], v[72:73]
	v_fma_f64 v[30:31], v[33:34], v[97:98], -v[74:75]
	v_fma_f64 v[36:37], v[36:37], v[113:114], v[76:77]
	v_fma_f64 v[38:39], v[38:39], v[113:114], -v[78:79]
	;; [unrolled: 2-line block ×3, first 2 shown]
	ds_store_b128 v132, v[28:31] offset:13824
	ds_store_b128 v132, v[36:39] offset:16128
	;; [unrolled: 1-line block ×4, first 2 shown]
	s_and_saveexec_b32 s3, vcc_lo
	s_cbranch_execz .LBB0_3
; %bb.2:
	scratch_load_b64 v[70:71], off, off     ; 8-byte Folded Reload
	v_mad_u64_u32 v[20:21], null, 0xffffb4a0, s8, v[0:1]
	s_mul_i32 s2, s9, 0xffffb4a0
	s_waitcnt vmcnt(0)
	s_clause 0x1
	global_load_b128 v[0:3], v[70:71], off offset:1440
	global_load_b128 v[4:7], v[70:71], off offset:3744
	scratch_load_b64 v[8:9], off, off offset:40 ; 8-byte Folded Reload
	s_sub_i32 s2, s2, s8
	s_waitcnt vmcnt(0)
	global_load_b128 v[8:11], v[8:9], off offset:1952
	scratch_load_b64 v[16:17], off, off offset:32 ; 8-byte Folded Reload
	v_add_nc_u32_e32 v21, s2, v21
	v_add_co_u32 v32, s2, v20, s14
	s_delay_alu instid0(VALU_DEP_1) | instskip(NEXT) | instid1(VALU_DEP_2)
	v_add_co_ci_u32_e64 v33, s2, s15, v21, s2
	v_add_co_u32 v44, s2, v32, s14
	s_delay_alu instid0(VALU_DEP_1) | instskip(NEXT) | instid1(VALU_DEP_2)
	v_add_co_ci_u32_e64 v45, s2, s15, v33, s2
	;; [unrolled: 3-line block ×3, first 2 shown]
	v_add_co_u32 v52, s2, v48, s14
	s_delay_alu instid0(VALU_DEP_1)
	v_add_co_ci_u32_e64 v53, s2, s15, v49, s2
	s_waitcnt vmcnt(0)
	s_clause 0x1
	global_load_b128 v[12:15], v[16:17], off offset:160
	global_load_b128 v[16:19], v[16:17], off offset:2464
	scratch_load_b64 v[28:29], off, off offset:24 ; 8-byte Folded Reload
	global_load_b128 v[36:39], v[20:21], off
	v_add_co_u32 v20, s2, v52, s14
	s_delay_alu instid0(VALU_DEP_1) | instskip(SKIP_2) | instid1(VALU_DEP_1)
	v_add_co_ci_u32_e64 v21, s2, s15, v53, s2
	global_load_b128 v[40:43], v[32:33], off
	v_add_co_u32 v32, s2, v20, s14
	v_add_co_ci_u32_e64 v33, s2, s15, v21, s2
	global_load_b128 v[44:47], v[44:45], off
	v_add_co_u32 v68, s2, v32, s14
	s_delay_alu instid0(VALU_DEP_1)
	v_add_co_ci_u32_e64 v69, s2, s15, v33, s2
	s_waitcnt vmcnt(3)
	s_clause 0x1
	global_load_b128 v[24:27], v[28:29], off offset:672
	global_load_b128 v[28:31], v[28:29], off offset:2976
	global_load_b128 v[48:51], v[48:49], off
	global_load_b128 v[52:55], v[52:53], off
	global_load_b128 v[56:59], v[20:21], off
	global_load_b128 v[60:63], v[32:33], off
	global_load_b128 v[64:67], v[68:69], off
	v_add_co_u32 v20, s2, v68, s14
	s_delay_alu instid0(VALU_DEP_1) | instskip(SKIP_1) | instid1(VALU_DEP_1)
	v_add_co_ci_u32_e64 v21, s2, s15, v69, s2
	v_add_co_u32 v32, s2, 0x4000, v70
	v_add_co_ci_u32_e64 v33, s2, 0, v71, s2
	s_delay_alu instid0(VALU_DEP_4) | instskip(NEXT) | instid1(VALU_DEP_1)
	v_add_co_u32 v84, s2, v20, s14
	v_add_co_ci_u32_e64 v85, s2, s15, v21, s2
	global_load_b128 v[68:71], v[32:33], off offset:1184
	global_load_b128 v[72:75], v[20:21], off
	global_load_b128 v[76:79], v[32:33], off offset:3488
	scratch_load_b64 v[20:21], off, off offset:8 ; 8-byte Folded Reload
	s_waitcnt vmcnt(12)
	v_mul_f64 v[32:33], v[42:43], v[6:7]
	v_mul_f64 v[6:7], v[40:41], v[6:7]
	s_waitcnt vmcnt(11)
	v_mul_f64 v[88:89], v[46:47], v[10:11]
	v_mul_f64 v[10:11], v[44:45], v[10:11]
	s_waitcnt vmcnt(0)
	global_load_b128 v[80:83], v[20:21], off offset:1696
	global_load_b128 v[84:87], v[84:85], off
	v_mul_f64 v[20:21], v[38:39], v[2:3]
	v_mul_f64 v[2:3], v[36:37], v[2:3]
	;; [unrolled: 1-line block ×14, first 2 shown]
	v_fma_f64 v[18:19], v[36:37], v[0:1], v[20:21]
	v_fma_f64 v[20:21], v[38:39], v[0:1], -v[2:3]
	v_fma_f64 v[0:1], v[40:41], v[4:5], v[32:33]
	v_fma_f64 v[2:3], v[42:43], v[4:5], -v[6:7]
	;; [unrolled: 2-line block ×9, first 2 shown]
	s_waitcnt vmcnt(0)
	v_mul_f64 v[106:107], v[86:87], v[82:83]
	v_mul_f64 v[82:83], v[84:85], v[82:83]
	s_delay_alu instid0(VALU_DEP_2) | instskip(NEXT) | instid1(VALU_DEP_2)
	v_fma_f64 v[44:45], v[84:85], v[80:81], v[106:107]
	v_fma_f64 v[46:47], v[86:87], v[80:81], -v[82:83]
	ds_store_b128 v132, v[18:21] offset:1440
	ds_store_b128 v132, v[0:3] offset:3744
	;; [unrolled: 1-line block ×10, first 2 shown]
.LBB0_3:
	s_or_b32 exec_lo, exec_lo, s3
	s_waitcnt lgkmcnt(0)
	s_waitcnt_vscnt null, 0x0
	s_barrier
	buffer_gl0_inv
	ds_load_b128 v[52:55], v132
	ds_load_b128 v[56:59], v132 offset:2304
	ds_load_b128 v[112:115], v132 offset:4608
	;; [unrolled: 1-line block ×9, first 2 shown]
                                        ; implicit-def: $vgpr68_vgpr69
                                        ; implicit-def: $vgpr72_vgpr73
                                        ; implicit-def: $vgpr76_vgpr77
                                        ; implicit-def: $vgpr80_vgpr81
                                        ; implicit-def: $vgpr84_vgpr85
                                        ; implicit-def: $vgpr64_vgpr65
                                        ; implicit-def: $vgpr60_vgpr61
                                        ; implicit-def: $vgpr48_vgpr49
                                        ; implicit-def: $vgpr44_vgpr45
                                        ; implicit-def: $vgpr40_vgpr41
	s_and_saveexec_b32 s2, vcc_lo
	s_cbranch_execz .LBB0_5
; %bb.4:
	ds_load_b128 v[40:43], v132 offset:1440
	ds_load_b128 v[44:47], v132 offset:3744
	;; [unrolled: 1-line block ×10, first 2 shown]
.LBB0_5:
	s_or_b32 exec_lo, exec_lo, s2
	s_waitcnt lgkmcnt(7)
	v_add_f64 v[0:1], v[52:53], v[112:113]
	v_add_f64 v[2:3], v[54:55], v[114:115]
	s_waitcnt lgkmcnt(5)
	v_add_f64 v[8:9], v[112:113], -v[116:117]
	v_add_f64 v[16:17], v[116:117], -v[112:113]
	s_waitcnt lgkmcnt(1)
	v_add_f64 v[12:13], v[112:113], v[104:105]
	v_add_f64 v[112:113], v[112:113], -v[104:105]
	v_add_f64 v[24:25], v[104:105], -v[108:109]
	;; [unrolled: 1-line block ×3, first 2 shown]
	v_add_f64 v[4:5], v[116:117], v[108:109]
	v_add_f64 v[20:21], v[118:119], -v[110:111]
	v_add_f64 v[6:7], v[118:119], v[110:111]
	v_add_f64 v[32:33], v[116:117], -v[108:109]
	v_add_f64 v[10:11], v[114:115], -v[118:119]
	;; [unrolled: 1-line block ×3, first 2 shown]
	v_add_f64 v[14:15], v[114:115], v[106:107]
	v_add_f64 v[28:29], v[106:107], -v[110:111]
	v_add_f64 v[30:31], v[110:111], -v[106:107]
	s_waitcnt lgkmcnt(0)
	v_add_f64 v[120:121], v[98:99], v[94:95]
	v_add_f64 v[122:123], v[96:97], v[92:93]
	v_add_f64 v[124:125], v[92:93], -v[88:89]
	s_mov_b32 s14, 0x134454ff
	s_mov_b32 s15, 0x3fee6f0e
	v_add_f64 v[126:127], v[94:95], -v[90:91]
	s_mov_b32 s2, 0x4755a5e
	s_mov_b32 s3, 0x3fe2cf23
	;; [unrolled: 1-line block ×10, first 2 shown]
	s_barrier
	buffer_gl0_inv
	v_add_f64 v[0:1], v[0:1], v[116:117]
	v_add_f64 v[2:3], v[2:3], v[118:119]
	v_add_f64 v[116:117], v[114:115], -v[106:107]
	v_add_f64 v[114:115], v[96:97], -v[100:101]
	;; [unrolled: 1-line block ×3, first 2 shown]
	v_add_f64 v[30:31], v[18:19], v[30:31]
	v_fma_f64 v[120:121], v[120:121], -0.5, v[58:59]
	v_add_f64 v[0:1], v[0:1], v[108:109]
	v_add_f64 v[2:3], v[2:3], v[110:111]
	v_add_f64 v[108:109], v[102:103], -v[90:91]
	v_add_f64 v[110:111], v[100:101], -v[88:89]
	s_delay_alu instid0(VALU_DEP_4)
	v_add_f64 v[36:37], v[0:1], v[104:105]
	v_add_f64 v[0:1], v[56:57], v[96:97]
	v_add_f64 v[38:39], v[2:3], v[106:107]
	v_add_f64 v[2:3], v[58:59], v[98:99]
	v_add_f64 v[104:105], v[100:101], v[88:89]
	v_add_f64 v[106:107], v[102:103], v[90:91]
	v_add_f64 v[0:1], v[0:1], v[100:101]
	v_add_f64 v[100:101], v[100:101], -v[96:97]
	v_add_f64 v[2:3], v[2:3], v[102:103]
	v_add_f64 v[102:103], v[102:103], -v[98:99]
	v_add_f64 v[98:99], v[98:99], -v[94:95]
	;; [unrolled: 1-line block ×3, first 2 shown]
	v_fma_f64 v[104:105], v[104:105], -0.5, v[56:57]
	v_fma_f64 v[58:59], v[106:107], -0.5, v[58:59]
	;; [unrolled: 1-line block ×7, first 2 shown]
	v_add_f64 v[0:1], v[0:1], v[88:89]
	v_add_f64 v[88:89], v[88:89], -v[92:93]
	v_add_f64 v[2:3], v[2:3], v[90:91]
	v_add_f64 v[90:91], v[90:91], -v[94:95]
	v_fma_f64 v[18:19], v[108:109], s[18:19], v[56:57]
	v_fma_f64 v[56:57], v[108:109], s[14:15], v[56:57]
	v_add_f64 v[92:93], v[0:1], v[92:93]
	v_add_f64 v[94:95], v[2:3], v[94:95]
	s_delay_alu instid0(VALU_DEP_4) | instskip(NEXT) | instid1(VALU_DEP_4)
	v_fma_f64 v[18:19], v[98:99], s[2:3], v[18:19]
	v_fma_f64 v[56:57], v[98:99], s[8:9], v[56:57]
	s_delay_alu instid0(VALU_DEP_4)
	v_add_f64 v[0:1], v[36:37], v[92:93]
	v_add_f64 v[4:5], v[36:37], -v[92:93]
	v_add_f64 v[92:93], v[114:115], v[124:125]
	v_add_f64 v[114:115], v[8:9], v[24:25]
	v_fma_f64 v[8:9], v[98:99], s[14:15], v[104:105]
	v_add_f64 v[2:3], v[38:39], v[94:95]
	v_add_f64 v[6:7], v[38:39], -v[94:95]
	v_add_f64 v[94:95], v[118:119], v[126:127]
	v_add_f64 v[118:119], v[10:11], v[28:29]
	v_fma_f64 v[10:11], v[96:97], s[18:19], v[58:59]
	v_add_f64 v[38:39], v[16:17], v[26:27]
	v_fma_f64 v[16:17], v[110:111], s[14:15], v[120:121]
	;; [unrolled: 2-line block ×3, first 2 shown]
	v_fma_f64 v[10:11], v[110:111], s[8:9], v[10:11]
	s_delay_alu instid0(VALU_DEP_4) | instskip(NEXT) | instid1(VALU_DEP_3)
	v_fma_f64 v[16:17], v[96:97], s[8:9], v[16:17]
	v_fma_f64 v[8:9], v[92:93], s[16:17], v[8:9]
	s_delay_alu instid0(VALU_DEP_3) | instskip(NEXT) | instid1(VALU_DEP_3)
	v_fma_f64 v[10:11], v[94:95], s[16:17], v[10:11]
	v_fma_f64 v[16:17], v[36:37], s[16:17], v[16:17]
	s_delay_alu instid0(VALU_DEP_3) | instskip(SKIP_1) | instid1(VALU_DEP_2)
	v_mul_f64 v[12:13], v[8:9], s[20:21]
	v_mul_f64 v[8:9], v[8:9], s[8:9]
	v_fma_f64 v[12:13], v[10:11], s[2:3], v[12:13]
	s_delay_alu instid0(VALU_DEP_2) | instskip(SKIP_2) | instid1(VALU_DEP_2)
	v_fma_f64 v[14:15], v[10:11], s[20:21], v[8:9]
	v_fma_f64 v[10:11], v[112:113], s[18:19], v[122:123]
	;; [unrolled: 1-line block ×4, first 2 shown]
	s_delay_alu instid0(VALU_DEP_2) | instskip(NEXT) | instid1(VALU_DEP_2)
	v_fma_f64 v[8:9], v[20:21], s[2:3], v[8:9]
	v_fma_f64 v[28:29], v[118:119], s[16:17], v[10:11]
	s_delay_alu instid0(VALU_DEP_2) | instskip(NEXT) | instid1(VALU_DEP_2)
	v_fma_f64 v[24:25], v[114:115], s[16:17], v[8:9]
	v_add_f64 v[10:11], v[28:29], v[14:15]
	v_add_f64 v[14:15], v[28:29], -v[14:15]
	v_add_f64 v[28:29], v[100:101], v[88:89]
	s_delay_alu instid0(VALU_DEP_4) | instskip(SKIP_2) | instid1(VALU_DEP_4)
	v_add_f64 v[8:9], v[24:25], v[12:13]
	v_add_f64 v[12:13], v[24:25], -v[12:13]
	v_mul_f64 v[24:25], v[16:17], s[14:15]
	v_fma_f64 v[18:19], v[28:29], s[16:17], v[18:19]
	v_fma_f64 v[28:29], v[28:29], s[16:17], v[56:57]
	;; [unrolled: 1-line block ×3, first 2 shown]
	s_delay_alu instid0(VALU_DEP_3) | instskip(SKIP_1) | instid1(VALU_DEP_3)
	v_fma_f64 v[24:25], v[18:19], s[16:17], v[24:25]
	v_mul_f64 v[18:19], v[18:19], s[18:19]
	v_fma_f64 v[56:57], v[96:97], s[2:3], v[56:57]
	s_delay_alu instid0(VALU_DEP_2) | instskip(SKIP_4) | instid1(VALU_DEP_4)
	v_fma_f64 v[26:27], v[16:17], s[16:17], v[18:19]
	v_fma_f64 v[16:17], v[20:21], s[18:19], v[52:53]
	;; [unrolled: 1-line block ×6, first 2 shown]
	s_delay_alu instid0(VALU_DEP_4) | instskip(NEXT) | instid1(VALU_DEP_4)
	v_fma_f64 v[52:53], v[116:117], s[8:9], v[52:53]
	v_fma_f64 v[18:19], v[112:113], s[8:9], v[18:19]
	s_delay_alu instid0(VALU_DEP_3) | instskip(NEXT) | instid1(VALU_DEP_3)
	v_fma_f64 v[88:89], v[38:39], s[16:17], v[16:17]
	v_fma_f64 v[38:39], v[38:39], s[16:17], v[52:53]
	;; [unrolled: 1-line block ×3, first 2 shown]
	s_delay_alu instid0(VALU_DEP_4) | instskip(NEXT) | instid1(VALU_DEP_4)
	v_fma_f64 v[90:91], v[30:31], s[16:17], v[18:19]
	v_add_f64 v[16:17], v[88:89], v[24:25]
	v_add_f64 v[24:25], v[88:89], -v[24:25]
	s_delay_alu instid0(VALU_DEP_4) | instskip(NEXT) | instid1(VALU_DEP_4)
	v_fma_f64 v[52:53], v[112:113], s[2:3], v[52:53]
	v_add_f64 v[18:19], v[90:91], v[26:27]
	v_add_f64 v[26:27], v[90:91], -v[26:27]
	v_add_f64 v[88:89], v[48:49], -v[80:81]
	s_delay_alu instid0(VALU_DEP_4) | instskip(SKIP_1) | instid1(VALU_DEP_1)
	v_fma_f64 v[52:53], v[30:31], s[16:17], v[52:53]
	v_mul_f64 v[30:31], v[28:29], s[16:17]
	v_fma_f64 v[54:55], v[36:37], s[14:15], -v[30:31]
	v_mul_f64 v[30:31], v[36:37], s[16:17]
	s_delay_alu instid0(VALU_DEP_2) | instskip(NEXT) | instid1(VALU_DEP_2)
	v_add_f64 v[36:37], v[38:39], -v[54:55]
	v_fma_f64 v[56:57], v[28:29], s[18:19], -v[30:31]
	v_add_f64 v[28:29], v[38:39], v[54:55]
	v_fma_f64 v[54:55], v[96:97], s[14:15], v[58:59]
	v_fma_f64 v[58:59], v[112:113], s[14:15], v[122:123]
	s_delay_alu instid0(VALU_DEP_4)
	v_add_f64 v[30:31], v[52:53], v[56:57]
	v_add_f64 v[38:39], v[52:53], -v[56:57]
	v_fma_f64 v[52:53], v[98:99], s[18:19], v[104:105]
	v_fma_f64 v[56:57], v[116:117], s[18:19], v[106:107]
	;; [unrolled: 1-line block ×4, first 2 shown]
	s_delay_alu instid0(VALU_DEP_4) | instskip(NEXT) | instid1(VALU_DEP_4)
	v_fma_f64 v[52:53], v[108:109], s[8:9], v[52:53]
	v_fma_f64 v[20:21], v[20:21], s[8:9], v[56:57]
	s_delay_alu instid0(VALU_DEP_4) | instskip(NEXT) | instid1(VALU_DEP_4)
	v_fma_f64 v[54:55], v[94:95], s[16:17], v[54:55]
	v_fma_f64 v[32:33], v[118:119], s[16:17], v[32:33]
	;; [unrolled: 3-line block ×3, first 2 shown]
	v_add_f64 v[92:93], v[64:65], -v[72:73]
	s_delay_alu instid0(VALU_DEP_3) | instskip(NEXT) | instid1(VALU_DEP_1)
	v_mul_f64 v[56:57], v[52:53], s[20:21]
	v_fma_f64 v[56:57], v[54:55], s[2:3], -v[56:57]
	v_mul_f64 v[54:55], v[54:55], s[20:21]
	s_delay_alu instid0(VALU_DEP_1) | instskip(NEXT) | instid1(VALU_DEP_3)
	v_fma_f64 v[58:59], v[52:53], s[8:9], -v[54:55]
	v_add_f64 v[52:53], v[20:21], v[56:57]
	v_add_f64 v[56:57], v[20:21], -v[56:57]
	v_mul_lo_u16 v20, v22, 10
	s_delay_alu instid0(VALU_DEP_1) | instskip(NEXT) | instid1(VALU_DEP_1)
	v_and_b32_e32 v20, 0xffff, v20
	v_lshlrev_b32_e32 v34, 4, v20
	v_add_f64 v[20:21], v[62:63], -v[86:87]
	v_add_f64 v[54:55], v[32:33], v[58:59]
	v_add_f64 v[58:59], v[32:33], -v[58:59]
	ds_store_b128 v34, v[0:3]
	ds_store_b128 v34, v[4:7] offset:80
	ds_store_b128 v34, v[8:11] offset:16
	;; [unrolled: 1-line block ×9, first 2 shown]
	v_add_f64 v[0:1], v[60:61], -v[68:69]
	v_add_f64 v[2:3], v[84:85], -v[76:77]
	;; [unrolled: 1-line block ×14, first 2 shown]
	v_add_f64 v[0:1], v[2:3], v[0:1]
	v_add_f64 v[2:3], v[68:69], -v[60:61]
	s_delay_alu instid0(VALU_DEP_1) | instskip(SKIP_1) | instid1(VALU_DEP_1)
	v_add_f64 v[2:3], v[4:5], v[2:3]
	v_add_f64 v[4:5], v[62:63], -v[70:71]
	v_add_f64 v[4:5], v[6:7], v[4:5]
	v_add_f64 v[6:7], v[70:71], -v[62:63]
	s_delay_alu instid0(VALU_DEP_1) | instskip(SKIP_1) | instid1(VALU_DEP_1)
	v_add_f64 v[6:7], v[8:9], v[6:7]
	v_add_f64 v[8:9], v[48:49], -v[64:65]
	;; [unrolled: 5-line block ×3, first 2 shown]
	v_add_f64 v[14:15], v[14:15], v[12:13]
	v_add_f64 v[12:13], v[66:67], -v[50:51]
	s_delay_alu instid0(VALU_DEP_1) | instskip(SKIP_2) | instid1(VALU_DEP_2)
	v_add_f64 v[18:19], v[16:17], v[12:13]
	v_add_f64 v[12:13], v[84:85], v[60:61]
	;; [unrolled: 1-line block ×3, first 2 shown]
	v_fma_f64 v[12:13], v[12:13], -0.5, v[44:45]
	s_delay_alu instid0(VALU_DEP_2) | instskip(NEXT) | instid1(VALU_DEP_2)
	v_fma_f64 v[16:17], v[16:17], -0.5, v[44:45]
	v_fma_f64 v[28:29], v[26:27], s[14:15], v[12:13]
	s_delay_alu instid0(VALU_DEP_2) | instskip(SKIP_2) | instid1(VALU_DEP_3)
	v_fma_f64 v[24:25], v[20:21], s[18:19], v[16:17]
	v_fma_f64 v[16:17], v[20:21], s[14:15], v[16:17]
	;; [unrolled: 1-line block ×4, first 2 shown]
	s_delay_alu instid0(VALU_DEP_3) | instskip(SKIP_1) | instid1(VALU_DEP_4)
	v_fma_f64 v[16:17], v[26:27], s[2:3], v[16:17]
	v_fma_f64 v[26:27], v[20:21], s[8:9], v[28:29]
	v_fma_f64 v[12:13], v[20:21], s[2:3], v[12:13]
	v_add_f64 v[20:21], v[70:71], v[78:79]
	v_add_f64 v[28:29], v[86:87], v[62:63]
	s_delay_alu instid0(VALU_DEP_4) | instskip(NEXT) | instid1(VALU_DEP_4)
	v_fma_f64 v[26:27], v[2:3], s[16:17], v[26:27]
	v_fma_f64 v[96:97], v[2:3], s[16:17], v[12:13]
	s_delay_alu instid0(VALU_DEP_4) | instskip(NEXT) | instid1(VALU_DEP_4)
	v_fma_f64 v[20:21], v[20:21], -0.5, v[46:47]
	v_fma_f64 v[28:29], v[28:29], -0.5, v[46:47]
	s_delay_alu instid0(VALU_DEP_2) | instskip(NEXT) | instid1(VALU_DEP_2)
	v_fma_f64 v[38:39], v[36:37], s[18:19], v[20:21]
	v_fma_f64 v[32:33], v[30:31], s[14:15], v[28:29]
	;; [unrolled: 1-line block ×4, first 2 shown]
	s_delay_alu instid0(VALU_DEP_3) | instskip(NEXT) | instid1(VALU_DEP_3)
	v_fma_f64 v[32:33], v[36:37], s[8:9], v[32:33]
	v_fma_f64 v[28:29], v[36:37], s[2:3], v[28:29]
	;; [unrolled: 1-line block ×3, first 2 shown]
	s_delay_alu instid0(VALU_DEP_4)
	v_fma_f64 v[20:21], v[30:31], s[2:3], v[20:21]
	v_add_f64 v[30:31], v[72:73], v[64:65]
	v_add_f64 v[38:39], v[80:81], v[48:49]
	v_fma_f64 v[32:33], v[6:7], s[16:17], v[32:33]
	v_fma_f64 v[98:99], v[6:7], s[16:17], v[28:29]
	;; [unrolled: 1-line block ×4, first 2 shown]
	v_fma_f64 v[30:31], v[30:31], -0.5, v[40:41]
	v_fma_f64 v[38:39], v[38:39], -0.5, v[40:41]
	s_delay_alu instid0(VALU_DEP_4) | instskip(NEXT) | instid1(VALU_DEP_3)
	v_mul_f64 v[2:3], v[28:29], s[2:3]
	v_fma_f64 v[54:55], v[52:53], s[14:15], v[30:31]
	v_fma_f64 v[30:31], v[52:53], s[18:19], v[30:31]
	s_delay_alu instid0(VALU_DEP_4) | instskip(SKIP_1) | instid1(VALU_DEP_4)
	v_fma_f64 v[58:59], v[56:57], s[18:19], v[38:39]
	v_fma_f64 v[38:39], v[56:57], s[14:15], v[38:39]
	v_fma_f64 v[54:55], v[56:57], s[2:3], v[54:55]
	s_delay_alu instid0(VALU_DEP_4) | instskip(NEXT) | instid1(VALU_DEP_4)
	v_fma_f64 v[30:31], v[56:57], s[8:9], v[30:31]
	v_fma_f64 v[56:57], v[52:53], s[2:3], v[58:59]
	s_delay_alu instid0(VALU_DEP_4) | instskip(SKIP_2) | instid1(VALU_DEP_4)
	v_fma_f64 v[38:39], v[52:53], s[8:9], v[38:39]
	v_add_f64 v[52:53], v[74:75], v[66:67]
	v_add_f64 v[58:59], v[82:83], v[50:51]
	v_fma_f64 v[4:5], v[10:11], s[16:17], v[56:57]
	s_delay_alu instid0(VALU_DEP_4) | instskip(NEXT) | instid1(VALU_DEP_4)
	v_fma_f64 v[6:7], v[10:11], s[16:17], v[38:39]
	v_fma_f64 v[52:53], v[52:53], -0.5, v[42:43]
	s_delay_alu instid0(VALU_DEP_4) | instskip(NEXT) | instid1(VALU_DEP_2)
	v_fma_f64 v[58:59], v[58:59], -0.5, v[42:43]
	v_fma_f64 v[90:91], v[88:89], s[18:19], v[52:53]
	v_fma_f64 v[52:53], v[88:89], s[14:15], v[52:53]
	s_delay_alu instid0(VALU_DEP_3) | instskip(SKIP_1) | instid1(VALU_DEP_4)
	v_fma_f64 v[94:95], v[92:93], s[14:15], v[58:59]
	v_fma_f64 v[58:59], v[92:93], s[18:19], v[58:59]
	;; [unrolled: 1-line block ×3, first 2 shown]
	s_delay_alu instid0(VALU_DEP_4) | instskip(NEXT) | instid1(VALU_DEP_4)
	v_fma_f64 v[52:53], v[92:93], s[2:3], v[52:53]
	v_fma_f64 v[92:93], v[88:89], s[8:9], v[94:95]
	;; [unrolled: 1-line block ×7, first 2 shown]
	v_mul_f64 v[30:31], v[98:99], s[16:17]
	v_fma_f64 v[12:13], v[14:15], s[16:17], v[90:91]
	v_fma_f64 v[24:25], v[14:15], s[16:17], v[52:53]
	v_mul_f64 v[14:15], v[96:97], s[18:19]
	v_mul_f64 v[10:11], v[94:95], s[8:9]
	v_fma_f64 v[16:17], v[18:19], s[16:17], v[92:93]
	v_fma_f64 v[20:21], v[18:19], s[16:17], v[58:59]
	;; [unrolled: 1-line block ×3, first 2 shown]
	v_fma_f64 v[30:31], v[26:27], s[18:19], -v[30:31]
	v_fma_f64 v[18:19], v[28:29], s[20:21], v[10:11]
	v_mul_f64 v[10:11], v[32:33], s[14:15]
	v_fma_f64 v[28:29], v[32:33], s[16:17], v[14:15]
	v_mul_f64 v[14:15], v[26:27], s[16:17]
	v_mul_f64 v[26:27], v[88:89], s[20:21]
	;; [unrolled: 1-line block ×3, first 2 shown]
	v_add_f64 v[152:153], v[0:1], -v[2:3]
	v_add_f64 v[54:55], v[20:21], -v[30:31]
	;; [unrolled: 1-line block ×3, first 2 shown]
	v_fma_f64 v[10:11], v[96:97], s[16:17], v[10:11]
	v_add_f64 v[158:159], v[16:17], -v[28:29]
	v_fma_f64 v[14:15], v[98:99], s[14:15], -v[14:15]
	v_fma_f64 v[26:27], v[36:37], s[2:3], -v[26:27]
	;; [unrolled: 1-line block ×3, first 2 shown]
	s_load_b64 s[2:3], s[0:1], 0x8
	v_add_co_u32 v36, s0, 0x5a, v22
	s_delay_alu instid0(VALU_DEP_1) | instskip(NEXT) | instid1(VALU_DEP_2)
	v_add_co_ci_u32_e64 v37, null, 0, 0, s0
	v_mul_u32_u24_e32 v38, 10, v36
	scratch_store_b32 off, v38, off offset:336 ; 4-byte Folded Spill
	v_add_f64 v[156:157], v[4:5], -v[10:11]
	v_add_f64 v[52:53], v[6:7], -v[14:15]
	;; [unrolled: 1-line block ×4, first 2 shown]
	s_and_saveexec_b32 s0, vcc_lo
	s_cbranch_execz .LBB0_7
; %bb.6:
	v_add_f64 v[38:39], v[50:51], v[42:43]
	v_add_f64 v[42:43], v[62:63], v[46:47]
	;; [unrolled: 1-line block ×12, first 2 shown]
	v_mul_u32_u24_e32 v8, 10, v36
	s_delay_alu instid0(VALU_DEP_1) | instskip(SKIP_4) | instid1(VALU_DEP_4)
	v_lshlrev_b32_e32 v8, 4, v8
	v_add_f64 v[38:39], v[66:67], v[38:39]
	v_add_f64 v[42:43], v[70:71], v[42:43]
	;; [unrolled: 1-line block ×5, first 2 shown]
	s_delay_alu instid0(VALU_DEP_4) | instskip(NEXT) | instid1(VALU_DEP_4)
	v_add_f64 v[42:43], v[78:79], v[42:43]
	v_add_f64 v[40:41], v[72:73], v[40:41]
	s_delay_alu instid0(VALU_DEP_4) | instskip(NEXT) | instid1(VALU_DEP_4)
	v_add_f64 v[44:45], v[76:77], v[44:45]
	v_add_f64 v[38:39], v[82:83], v[38:39]
	;; [unrolled: 3-line block ×3, first 2 shown]
	s_delay_alu instid0(VALU_DEP_4) | instskip(NEXT) | instid1(VALU_DEP_3)
	v_add_f64 v[44:45], v[84:85], v[44:45]
	v_add_f64 v[6:7], v[42:43], v[38:39]
	v_add_f64 v[2:3], v[38:39], -v[42:43]
	s_delay_alu instid0(VALU_DEP_3)
	v_add_f64 v[4:5], v[44:45], v[40:41]
	v_add_f64 v[0:1], v[40:41], -v[44:45]
	ds_store_b128 v8, v[152:155] offset:96
	ds_store_b128 v8, v[156:159] offset:112
	;; [unrolled: 1-line block ×4, first 2 shown]
	ds_store_b128 v8, v[4:7]
	ds_store_b128 v8, v[10:13] offset:16
	ds_store_b128 v8, v[30:33] offset:64
	;; [unrolled: 1-line block ×5, first 2 shown]
.LBB0_7:
	s_or_b32 exec_lo, exec_lo, s0
	v_and_b32_e32 v0, 0xff, v22
	s_waitcnt lgkmcnt(0)
	s_waitcnt_vscnt null, 0x0
	s_barrier
	buffer_gl0_inv
	s_mov_b32 s0, 0x667f3bcd
	v_mul_lo_u16 v0, 0xcd, v0
	s_mov_b32 s1, 0xbfe6a09e
	s_mov_b32 s9, 0x3fe6a09e
	s_mov_b32 s8, s0
	s_mov_b32 s14, 0xcf328d46
	v_lshrrev_b16 v4, 11, v0
	s_mov_b32 s15, 0xbfed906b
	s_mov_b32 s21, 0x3fed906b
	;; [unrolled: 1-line block ×4, first 2 shown]
	v_mul_lo_u16 v0, v4, 10
	v_and_b32_e32 v4, 0xffff, v4
	s_mov_b32 s17, 0xbfd87de2
	s_mov_b32 s19, 0x3fd87de2
	;; [unrolled: 1-line block ×3, first 2 shown]
	v_sub_nc_u16 v0, v22, v0
	v_mul_u32_u24_e32 v4, 0xa0, v4
	s_delay_alu instid0(VALU_DEP_2) | instskip(NEXT) | instid1(VALU_DEP_1)
	v_and_b32_e32 v5, 0xff, v0
	v_mad_u64_u32 v[10:11], null, 0xf0, v5, s[2:3]
	s_delay_alu instid0(VALU_DEP_3)
	v_or_b32_e32 v4, v4, v5
	s_clause 0x2
	global_load_b128 v[38:41], v[10:11], off
	global_load_b128 v[28:31], v[10:11], off offset:16
	global_load_b128 v[24:27], v[10:11], off offset:32
	ds_load_b128 v[0:3], v132 offset:1440
	ds_load_b128 v[6:9], v132 offset:2880
	s_clause 0x7
	global_load_b128 v[76:79], v[10:11], off offset:112
	global_load_b128 v[92:95], v[10:11], off offset:128
	;; [unrolled: 1-line block ×8, first 2 shown]
	s_waitcnt vmcnt(10) lgkmcnt(1)
	v_mul_f64 v[12:13], v[2:3], v[40:41]
	s_waitcnt vmcnt(9) lgkmcnt(0)
	v_mul_f64 v[16:17], v[8:9], v[30:31]
	v_mul_f64 v[18:19], v[6:7], v[30:31]
	scratch_store_b128 off, v[28:31], off offset:228 ; 16-byte Folded Spill
	s_waitcnt vmcnt(8)
	scratch_store_b128 off, v[24:27], off offset:212 ; 16-byte Folded Spill
	v_mul_f64 v[14:15], v[0:1], v[40:41]
	scratch_store_b128 off, v[38:41], off offset:244 ; 16-byte Folded Spill
	s_waitcnt vmcnt(1)
	scratch_store_b128 off, v[44:47], off offset:308 ; 16-byte Folded Spill
	v_fma_f64 v[12:13], v[0:1], v[38:39], -v[12:13]
	v_fma_f64 v[16:17], v[6:7], v[28:29], -v[16:17]
	v_fma_f64 v[18:19], v[8:9], v[28:29], v[18:19]
	global_load_b128 v[28:31], v[10:11], off offset:48
	v_fma_f64 v[14:15], v[2:3], v[38:39], v[14:15]
	global_load_b128 v[38:41], v[10:11], off offset:64
	ds_load_b128 v[0:3], v132 offset:4320
	s_waitcnt lgkmcnt(0)
	v_mul_f64 v[20:21], v[2:3], v[26:27]
	v_mul_f64 v[6:7], v[0:1], v[26:27]
	s_delay_alu instid0(VALU_DEP_2) | instskip(NEXT) | instid1(VALU_DEP_2)
	v_fma_f64 v[20:21], v[0:1], v[24:25], -v[20:21]
	v_fma_f64 v[24:25], v[2:3], v[24:25], v[6:7]
	ds_load_b128 v[0:3], v132 offset:5760
	s_waitcnt vmcnt(1) lgkmcnt(0)
	v_mul_f64 v[6:7], v[2:3], v[30:31]
	scratch_store_b128 off, v[28:31], off offset:260 ; 16-byte Folded Spill
	s_waitcnt vmcnt(0)
	scratch_store_b128 off, v[38:41], off offset:276 ; 16-byte Folded Spill
	v_fma_f64 v[26:27], v[0:1], v[28:29], -v[6:7]
	v_mul_f64 v[0:1], v[0:1], v[30:31]
	s_delay_alu instid0(VALU_DEP_1) | instskip(SKIP_3) | instid1(VALU_DEP_1)
	v_fma_f64 v[28:29], v[2:3], v[28:29], v[0:1]
	ds_load_b128 v[0:3], v132 offset:7200
	s_waitcnt lgkmcnt(0)
	v_mul_f64 v[6:7], v[2:3], v[40:41]
	v_fma_f64 v[30:31], v[0:1], v[38:39], -v[6:7]
	v_mul_f64 v[0:1], v[0:1], v[40:41]
	global_load_b128 v[40:43], v[10:11], off offset:80
	v_fma_f64 v[32:33], v[2:3], v[38:39], v[0:1]
	ds_load_b128 v[0:3], v132 offset:8640
	s_waitcnt vmcnt(0) lgkmcnt(0)
	v_mul_f64 v[6:7], v[2:3], v[42:43]
	scratch_store_b128 off, v[40:43], off offset:292 ; 16-byte Folded Spill
	v_fma_f64 v[38:39], v[0:1], v[40:41], -v[6:7]
	v_mul_f64 v[0:1], v[0:1], v[42:43]
	s_delay_alu instid0(VALU_DEP_1) | instskip(SKIP_3) | instid1(VALU_DEP_1)
	v_fma_f64 v[40:41], v[2:3], v[40:41], v[0:1]
	ds_load_b128 v[0:3], v132 offset:10080
	s_waitcnt lgkmcnt(0)
	v_mul_f64 v[6:7], v[2:3], v[46:47]
	v_fma_f64 v[42:43], v[0:1], v[44:45], -v[6:7]
	v_mul_f64 v[0:1], v[0:1], v[46:47]
	s_delay_alu instid0(VALU_DEP_1) | instskip(SKIP_4) | instid1(VALU_DEP_1)
	v_fma_f64 v[49:50], v[2:3], v[44:45], v[0:1]
	global_load_b128 v[45:48], v[10:11], off offset:144
	ds_load_b128 v[0:3], v132 offset:11520
	s_waitcnt lgkmcnt(0)
	v_mul_f64 v[6:7], v[2:3], v[78:79]
	v_fma_f64 v[84:85], v[0:1], v[76:77], -v[6:7]
	v_mul_f64 v[0:1], v[0:1], v[78:79]
	s_delay_alu instid0(VALU_DEP_1) | instskip(SKIP_3) | instid1(VALU_DEP_1)
	v_fma_f64 v[86:87], v[2:3], v[76:77], v[0:1]
	ds_load_b128 v[0:3], v132 offset:17280
	s_waitcnt lgkmcnt(0)
	v_mul_f64 v[6:7], v[2:3], v[82:83]
	v_fma_f64 v[108:109], v[0:1], v[80:81], -v[6:7]
	v_mul_f64 v[0:1], v[0:1], v[82:83]
	s_delay_alu instid0(VALU_DEP_2) | instskip(NEXT) | instid1(VALU_DEP_2)
	v_add_f64 v[108:109], v[26:27], -v[108:109]
	v_fma_f64 v[110:111], v[2:3], v[80:81], v[0:1]
	ds_load_b128 v[0:3], v132 offset:14400
	v_add_f64 v[110:111], v[28:29], -v[110:111]
	s_waitcnt vmcnt(0) lgkmcnt(0)
	v_mul_f64 v[6:7], v[2:3], v[47:48]
	s_delay_alu instid0(VALU_DEP_1) | instskip(SKIP_1) | instid1(VALU_DEP_2)
	v_fma_f64 v[112:113], v[0:1], v[45:46], -v[6:7]
	v_mul_f64 v[0:1], v[0:1], v[47:48]
	v_add_f64 v[112:113], v[16:17], -v[112:113]
	s_delay_alu instid0(VALU_DEP_2) | instskip(SKIP_4) | instid1(VALU_DEP_2)
	v_fma_f64 v[114:115], v[2:3], v[45:46], v[0:1]
	ds_load_b128 v[0:3], v132 offset:20160
	s_waitcnt lgkmcnt(0)
	v_mul_f64 v[6:7], v[2:3], v[90:91]
	v_add_f64 v[114:115], v[18:19], -v[114:115]
	v_fma_f64 v[116:117], v[0:1], v[88:89], -v[6:7]
	v_mul_f64 v[0:1], v[0:1], v[90:91]
	s_delay_alu instid0(VALU_DEP_2) | instskip(NEXT) | instid1(VALU_DEP_2)
	v_add_f64 v[116:117], v[38:39], -v[116:117]
	v_fma_f64 v[118:119], v[2:3], v[88:89], v[0:1]
	ds_load_b128 v[0:3], v132 offset:12960
	s_waitcnt lgkmcnt(0)
	v_mul_f64 v[6:7], v[2:3], v[94:95]
	v_add_f64 v[118:119], v[40:41], -v[118:119]
	s_delay_alu instid0(VALU_DEP_2) | instskip(SKIP_1) | instid1(VALU_DEP_2)
	v_fma_f64 v[120:121], v[0:1], v[92:93], -v[6:7]
	v_mul_f64 v[0:1], v[0:1], v[94:95]
	v_add_f64 v[120:121], v[12:13], -v[120:121]
	s_delay_alu instid0(VALU_DEP_2) | instskip(SKIP_4) | instid1(VALU_DEP_2)
	v_fma_f64 v[122:123], v[2:3], v[92:93], v[0:1]
	ds_load_b128 v[0:3], v132 offset:18720
	s_waitcnt lgkmcnt(0)
	v_mul_f64 v[6:7], v[2:3], v[98:99]
	v_add_f64 v[122:123], v[14:15], -v[122:123]
	v_fma_f64 v[124:125], v[0:1], v[96:97], -v[6:7]
	v_mul_f64 v[0:1], v[0:1], v[98:99]
	s_delay_alu instid0(VALU_DEP_2) | instskip(NEXT) | instid1(VALU_DEP_2)
	v_add_f64 v[124:125], v[30:31], -v[124:125]
	v_fma_f64 v[126:127], v[2:3], v[96:97], v[0:1]
	ds_load_b128 v[0:3], v132 offset:15840
	s_waitcnt lgkmcnt(0)
	v_mul_f64 v[6:7], v[2:3], v[102:103]
	v_add_f64 v[126:127], v[32:33], -v[126:127]
	s_delay_alu instid0(VALU_DEP_2) | instskip(SKIP_1) | instid1(VALU_DEP_2)
	v_fma_f64 v[128:129], v[0:1], v[100:101], -v[6:7]
	v_mul_f64 v[0:1], v[0:1], v[102:103]
	v_add_f64 v[128:129], v[20:21], -v[128:129]
	s_delay_alu instid0(VALU_DEP_2) | instskip(SKIP_4) | instid1(VALU_DEP_2)
	v_fma_f64 v[130:131], v[2:3], v[100:101], v[0:1]
	ds_load_b128 v[0:3], v132 offset:21600
	s_waitcnt lgkmcnt(0)
	v_mul_f64 v[6:7], v[0:1], v[106:107]
	v_add_f64 v[130:131], v[24:25], -v[130:131]
	v_fma_f64 v[10:11], v[2:3], v[104:105], v[6:7]
	v_mul_f64 v[2:3], v[2:3], v[106:107]
	ds_load_b128 v[6:9], v132
	s_waitcnt lgkmcnt(0)
	s_waitcnt_vscnt null, 0x0
	s_barrier
	buffer_gl0_inv
	v_fma_f64 v[24:25], v[24:25], 2.0, -v[130:131]
	v_add_f64 v[135:136], v[49:50], -v[10:11]
	v_fma_f64 v[133:134], v[0:1], v[104:105], -v[2:3]
	v_add_f64 v[0:1], v[6:7], -v[84:85]
	v_add_f64 v[2:3], v[8:9], -v[86:87]
	v_fma_f64 v[10:11], v[38:39], 2.0, -v[116:117]
	v_fma_f64 v[38:39], v[12:13], 2.0, -v[120:121]
	;; [unrolled: 1-line block ×4, first 2 shown]
	v_add_f64 v[116:117], v[114:115], v[116:117]
	v_add_f64 v[124:125], v[122:123], v[124:125]
	v_add_f64 v[133:134], v[42:43], -v[133:134]
	v_fma_f64 v[84:85], v[6:7], 2.0, -v[0:1]
	v_fma_f64 v[86:87], v[8:9], 2.0, -v[2:3]
	;; [unrolled: 1-line block ×10, first 2 shown]
	v_add_f64 v[139:140], v[38:39], -v[12:13]
	v_lshlrev_b32_e32 v49, 4, v4
	v_add_f64 v[110:111], v[0:1], -v[110:111]
	v_add_f64 v[118:119], v[112:113], -v[118:119]
	v_add_f64 v[108:109], v[2:3], v[108:109]
	v_add_f64 v[126:127], v[120:121], -v[126:127]
	v_add_f64 v[135:136], v[128:129], -v[135:136]
	v_fma_f64 v[20:21], v[42:43], 2.0, -v[133:134]
	v_add_f64 v[133:134], v[130:131], v[133:134]
	v_add_f64 v[32:33], v[84:85], -v[6:7]
	v_add_f64 v[42:43], v[86:87], -v[8:9]
	;; [unrolled: 1-line block ×7, first 2 shown]
	v_add_f64 v[20:21], v[42:43], v[50:51]
	v_fma_f64 v[4:5], v[26:27], 2.0, -v[50:51]
	v_add_f64 v[18:19], v[32:33], -v[137:138]
	v_add_f64 v[10:11], v[139:140], -v[143:144]
	v_add_f64 v[12:13], v[141:142], v[145:146]
	v_fma_f64 v[149:150], v[42:43], 2.0, -v[20:21]
	v_fma_f64 v[42:43], v[86:87], 2.0, -v[42:43]
	;; [unrolled: 1-line block ×5, first 2 shown]
	v_fma_f64 v[6:7], v[10:11], s[8:9], v[18:19]
	v_fma_f64 v[14:15], v[139:140], 2.0, -v[10:11]
	v_fma_f64 v[2:3], v[114:115], 2.0, -v[116:117]
	v_fma_f64 v[8:9], v[12:13], s[8:9], v[20:21]
	s_delay_alu instid0(VALU_DEP_4) | instskip(NEXT) | instid1(VALU_DEP_2)
	v_fma_f64 v[6:7], v[12:13], s[0:1], v[6:7]
	v_fma_f64 v[8:9], v[10:11], s[8:9], v[8:9]
	v_fma_f64 v[10:11], v[141:142], 2.0, -v[12:13]
	v_fma_f64 v[12:13], v[14:15], s[0:1], v[147:148]
	s_delay_alu instid0(VALU_DEP_4) | instskip(NEXT) | instid1(VALU_DEP_4)
	v_fma_f64 v[18:19], v[18:19], 2.0, -v[6:7]
	v_fma_f64 v[20:21], v[20:21], 2.0, -v[8:9]
	s_delay_alu instid0(VALU_DEP_4)
	v_fma_f64 v[16:17], v[10:11], s[0:1], v[149:150]
	ds_store_b128 v49, v[6:9] offset:2240
	v_fma_f64 v[6:7], v[28:29], 2.0, -v[137:138]
	v_fma_f64 v[28:29], v[38:39], 2.0, -v[139:140]
	;; [unrolled: 1-line block ×5, first 2 shown]
	v_fma_f64 v[10:11], v[10:11], s[0:1], v[12:13]
	v_add_f64 v[30:31], v[32:33], -v[4:5]
	v_fma_f64 v[12:13], v[14:15], s[8:9], v[16:17]
	v_fma_f64 v[14:15], v[118:119], s[8:9], v[110:111]
	v_add_f64 v[40:41], v[42:43], -v[6:7]
	v_fma_f64 v[16:17], v[133:134], s[8:9], v[124:125]
	ds_store_b128 v49, v[18:21] offset:960
	v_add_f64 v[50:51], v[38:39], -v[8:9]
	v_add_f64 v[84:85], v[28:29], -v[24:25]
	v_fma_f64 v[8:9], v[0:1], 2.0, -v[110:111]
	v_fma_f64 v[0:1], v[112:113], 2.0, -v[118:119]
	ds_store_b128 v49, v[10:13] offset:1600
	v_fma_f64 v[164:165], v[116:117], s[0:1], v[14:15]
	v_fma_f64 v[14:15], v[116:117], s[8:9], v[108:109]
	v_fma_f64 v[16:17], v[135:136], s[8:9], v[16:17]
	v_add_f64 v[4:5], v[30:31], -v[50:51]
	v_add_f64 v[6:7], v[40:41], v[84:85]
	v_fma_f64 v[170:171], v[110:111], 2.0, -v[164:165]
	v_fma_f64 v[166:167], v[118:119], s[8:9], v[14:15]
	v_fma_f64 v[110:111], v[130:131], 2.0, -v[133:134]
	v_fma_f64 v[14:15], v[135:136], s[8:9], v[126:127]
	v_fma_f64 v[24:25], v[30:31], 2.0, -v[4:5]
	v_fma_f64 v[26:27], v[40:41], 2.0, -v[6:7]
	ds_store_b128 v49, v[4:7] offset:1920
	v_fma_f64 v[4:5], v[120:121], 2.0, -v[126:127]
	v_fma_f64 v[6:7], v[128:129], 2.0, -v[135:136]
	v_fma_f64 v[172:173], v[108:109], 2.0, -v[166:167]
	v_fma_f64 v[108:109], v[122:123], 2.0, -v[124:125]
	v_fma_f64 v[14:15], v[133:134], s[0:1], v[14:15]
	v_fma_f64 v[162:163], v[16:17], s[20:21], v[166:167]
	;; [unrolled: 1-line block ×3, first 2 shown]
	s_delay_alu instid0(VALU_DEP_3) | instskip(NEXT) | instid1(VALU_DEP_3)
	v_fma_f64 v[160:161], v[14:15], s[20:21], v[164:165]
	v_fma_f64 v[162:163], v[14:15], s[18:19], v[162:163]
	v_fma_f64 v[168:169], v[126:127], 2.0, -v[14:15]
	v_fma_f64 v[14:15], v[124:125], 2.0, -v[16:17]
	v_fma_f64 v[112:113], v[110:111], s[0:1], v[112:113]
	v_fma_f64 v[110:111], v[110:111], s[0:1], v[108:109]
	;; [unrolled: 1-line block ×3, first 2 shown]
	v_fma_f64 v[20:21], v[166:167], 2.0, -v[162:163]
	v_fma_f64 v[16:17], v[168:169], s[16:17], v[170:171]
	v_fma_f64 v[174:175], v[14:15], s[16:17], v[172:173]
	v_fma_f64 v[116:117], v[4:5], 2.0, -v[112:113]
	v_fma_f64 v[6:7], v[6:7], s[8:9], v[110:111]
	v_fma_f64 v[110:111], v[2:3], s[0:1], v[86:87]
	v_fma_f64 v[18:19], v[164:165], 2.0, -v[160:161]
	v_fma_f64 v[14:15], v[14:15], s[14:15], v[16:17]
	v_fma_f64 v[16:17], v[168:169], s[20:21], v[174:175]
	s_delay_alu instid0(VALU_DEP_4)
	v_fma_f64 v[110:111], v[0:1], s[8:9], v[110:111]
	v_fma_f64 v[0:1], v[0:1], s[0:1], v[8:9]
	ds_store_b128 v49, v[18:21] offset:1120
	v_fma_f64 v[18:19], v[147:148], 2.0, -v[10:11]
	v_fma_f64 v[20:21], v[149:150], 2.0, -v[12:13]
	ds_store_b128 v49, v[14:17] offset:1760
	v_fma_f64 v[10:11], v[172:173], 2.0, -v[16:17]
	v_fma_f64 v[16:17], v[32:33], 2.0, -v[30:31]
	;; [unrolled: 1-line block ×3, first 2 shown]
	v_fma_f64 v[114:115], v[2:3], s[0:1], v[0:1]
	v_fma_f64 v[0:1], v[6:7], s[18:19], v[110:111]
	v_cmp_gt_u16_e64 s0, 30, v22
	s_delay_alu instid0(VALU_DEP_3) | instskip(NEXT) | instid1(VALU_DEP_3)
	v_fma_f64 v[4:5], v[112:113], s[18:19], v[114:115]
	v_fma_f64 v[2:3], v[112:113], s[20:21], v[0:1]
	s_delay_alu instid0(VALU_DEP_2)
	v_fma_f64 v[0:1], v[6:7], s[14:15], v[4:5]
	v_fma_f64 v[4:5], v[108:109], 2.0, -v[6:7]
	v_fma_f64 v[108:109], v[8:9], 2.0, -v[114:115]
	ds_store_b128 v49, v[0:3] offset:2080
	ds_store_b128 v49, v[24:27] offset:640
	v_fma_f64 v[8:9], v[4:5], s[14:15], v[86:87]
	v_fma_f64 v[6:7], v[116:117], s[14:15], v[108:109]
	v_fma_f64 v[12:13], v[114:115], 2.0, -v[0:1]
	v_fma_f64 v[26:27], v[42:43], 2.0, -v[40:41]
	;; [unrolled: 1-line block ×3, first 2 shown]
	s_delay_alu instid0(VALU_DEP_4)
	v_fma_f64 v[4:5], v[4:5], s[16:17], v[6:7]
	v_fma_f64 v[6:7], v[116:117], s[18:19], v[8:9]
	v_fma_f64 v[8:9], v[170:171], 2.0, -v[14:15]
	v_fma_f64 v[14:15], v[110:111], 2.0, -v[2:3]
	;; [unrolled: 1-line block ×3, first 2 shown]
	v_add_f64 v[0:1], v[16:17], -v[0:1]
	s_delay_alu instid0(VALU_DEP_2) | instskip(NEXT) | instid1(VALU_DEP_2)
	v_add_f64 v[2:3], v[26:27], -v[2:3]
	v_fma_f64 v[24:25], v[16:17], 2.0, -v[0:1]
	ds_store_b128 v49, v[0:3] offset:1280
	ds_store_b128 v49, v[18:21] offset:320
	;; [unrolled: 1-line block ×4, first 2 shown]
	v_fma_f64 v[26:27], v[26:27], 2.0, -v[2:3]
	v_fma_f64 v[0:1], v[108:109], 2.0, -v[4:5]
	;; [unrolled: 1-line block ×3, first 2 shown]
	ds_store_b128 v49, v[4:7] offset:1440
	ds_store_b128 v49, v[24:27]
	ds_store_b128 v49, v[0:3] offset:160
	ds_store_b128 v49, v[160:163] offset:2400
	s_waitcnt lgkmcnt(0)
	s_barrier
	buffer_gl0_inv
	ds_load_b128 v[180:183], v132
	ds_load_b128 v[172:175], v132 offset:1440
	ds_load_b128 v[112:115], v132 offset:15360
	;; [unrolled: 1-line block ×14, first 2 shown]
	s_and_saveexec_b32 s1, s0
	s_cbranch_execz .LBB0_9
; %bb.8:
	ds_load_b128 v[160:163], v132 offset:7200
	ds_load_b128 v[152:155], v132 offset:14880
	;; [unrolled: 1-line block ×3, first 2 shown]
.LBB0_9:
	s_or_b32 exec_lo, exec_lo, s1
	v_lshlrev_b64 v[20:21], 5, v[22:23]
	v_add_co_u32 v188, s16, 0x10e, v22
	v_add_co_u32 v196, s17, 0x168, v22
	s_mov_b32 s15, 0xbfebb67a
	s_delay_alu instid0(VALU_DEP_3) | instskip(NEXT) | instid1(VALU_DEP_1)
	v_add_co_u32 v184, s1, s2, v20
	v_add_co_ci_u32_e64 v185, s1, s3, v21, s1
	v_cmp_gt_u16_e64 s1, 0x46, v22
	global_load_b128 v[108:111], v[184:185], off offset:2400
	s_waitcnt vmcnt(0) lgkmcnt(4)
	v_mul_f64 v[20:21], v[118:119], v[110:111]
	s_delay_alu instid0(VALU_DEP_1) | instskip(SKIP_1) | instid1(VALU_DEP_1)
	v_fma_f64 v[23:24], v[116:117], v[108:109], -v[20:21]
	v_mul_f64 v[20:21], v[116:117], v[110:111]
	v_fma_f64 v[25:26], v[118:119], v[108:109], v[20:21]
	global_load_b128 v[116:119], v[184:185], off offset:2416
	s_waitcnt vmcnt(0)
	v_mul_f64 v[20:21], v[114:115], v[118:119]
	s_delay_alu instid0(VALU_DEP_1) | instskip(SKIP_1) | instid1(VALU_DEP_1)
	v_fma_f64 v[27:28], v[112:113], v[116:117], -v[20:21]
	v_mul_f64 v[20:21], v[112:113], v[118:119]
	v_fma_f64 v[29:30], v[114:115], v[116:117], v[20:21]
	global_load_b128 v[112:115], v[184:185], off offset:3040
	s_waitcnt vmcnt(0)
	;; [unrolled: 7-line block ×3, first 2 shown]
	v_mul_f64 v[20:21], v[126:127], v[122:123]
	s_delay_alu instid0(VALU_DEP_1) | instskip(SKIP_1) | instid1(VALU_DEP_1)
	v_fma_f64 v[40:41], v[124:125], v[120:121], -v[20:21]
	v_mul_f64 v[20:21], v[124:125], v[122:123]
	v_fma_f64 v[42:43], v[126:127], v[120:121], v[20:21]
	v_add_co_u32 v20, s8, 0xffffffba, v22
	s_delay_alu instid0(VALU_DEP_1) | instskip(SKIP_1) | instid1(VALU_DEP_2)
	v_add_co_ci_u32_e64 v21, null, 0, -1, s8
	s_mov_b32 s8, 0xe8584caa
	v_cndmask_b32_e64 v50, v20, v36, s1
	s_mov_b32 s9, 0x3febb67a
	s_delay_alu instid0(VALU_DEP_2) | instskip(SKIP_1) | instid1(VALU_DEP_1)
	v_cndmask_b32_e64 v51, v21, v37, s1
	s_mov_b32 s14, s8
	v_lshlrev_b64 v[20:21], 5, v[50:51]
	s_delay_alu instid0(VALU_DEP_1) | instskip(NEXT) | instid1(VALU_DEP_1)
	v_add_co_u32 v20, s1, s2, v20
	v_add_co_ci_u32_e64 v21, s1, s3, v21, s1
	global_load_b128 v[124:127], v[20:21], off offset:2400
	s_waitcnt vmcnt(0)
	v_mul_f64 v[84:85], v[130:131], v[126:127]
	s_delay_alu instid0(VALU_DEP_1) | instskip(SKIP_1) | instid1(VALU_DEP_1)
	v_fma_f64 v[133:134], v[128:129], v[124:125], -v[84:85]
	v_mul_f64 v[84:85], v[128:129], v[126:127]
	v_fma_f64 v[186:187], v[130:131], v[124:125], v[84:85]
	global_load_b128 v[128:131], v[20:21], off offset:2416
	s_waitcnt vmcnt(0)
	v_mul_f64 v[20:21], v[18:19], v[130:131]
	s_delay_alu instid0(VALU_DEP_1) | instskip(SKIP_2) | instid1(VALU_DEP_2)
	v_fma_f64 v[189:190], v[16:17], v[128:129], -v[20:21]
	v_mul_f64 v[16:17], v[16:17], v[130:131]
	v_add_co_u32 v20, s18, 0x1c2, v22
	v_fma_f64 v[191:192], v[18:19], v[128:129], v[16:17]
	v_and_b32_e32 v16, 0xffff, v188
	s_delay_alu instid0(VALU_DEP_1) | instskip(NEXT) | instid1(VALU_DEP_1)
	v_mul_u32_u24_e32 v16, 0xcccd, v16
	v_lshrrev_b32_e32 v21, 23, v16
	s_delay_alu instid0(VALU_DEP_1) | instskip(NEXT) | instid1(VALU_DEP_1)
	v_mul_lo_u16 v16, 0xa0, v21
	v_sub_nc_u16 v33, v188, v16
	s_delay_alu instid0(VALU_DEP_1) | instskip(NEXT) | instid1(VALU_DEP_1)
	v_lshlrev_b16 v16, 5, v33
	v_and_b32_e32 v16, 0xffff, v16
	s_delay_alu instid0(VALU_DEP_1) | instskip(NEXT) | instid1(VALU_DEP_1)
	v_add_co_u32 v16, s1, s2, v16
	v_add_co_ci_u32_e64 v17, null, s3, 0, s1
	s_clause 0x1
	global_load_b128 v[84:87], v[16:17], off offset:2400
	global_load_b128 v[136:139], v[16:17], off offset:2416
	v_add_f64 v[16:17], v[176:177], v[31:32]
	s_waitcnt vmcnt(1) lgkmcnt(2)
	v_mul_f64 v[18:19], v[14:15], v[86:87]
	s_delay_alu instid0(VALU_DEP_1) | instskip(SKIP_1) | instid1(VALU_DEP_1)
	v_fma_f64 v[193:194], v[12:13], v[84:85], -v[18:19]
	v_mul_f64 v[12:13], v[12:13], v[86:87]
	v_fma_f64 v[197:198], v[14:15], v[84:85], v[12:13]
	s_waitcnt vmcnt(0)
	v_mul_f64 v[12:13], v[10:11], v[138:139]
	s_delay_alu instid0(VALU_DEP_1) | instskip(SKIP_2) | instid1(VALU_DEP_2)
	v_fma_f64 v[199:200], v[8:9], v[136:137], -v[12:13]
	v_mul_f64 v[8:9], v[8:9], v[138:139]
	v_add_f64 v[12:13], v[23:24], -v[27:28]
	v_fma_f64 v[201:202], v[10:11], v[136:137], v[8:9]
	v_and_b32_e32 v8, 0xffff, v196
	s_delay_alu instid0(VALU_DEP_1) | instskip(NEXT) | instid1(VALU_DEP_1)
	v_mul_u32_u24_e32 v8, 0xcccd, v8
	v_lshrrev_b32_e32 v8, 23, v8
	s_delay_alu instid0(VALU_DEP_1) | instskip(NEXT) | instid1(VALU_DEP_1)
	v_mul_lo_u16 v8, 0xa0, v8
	v_sub_nc_u16 v51, v196, v8
	s_delay_alu instid0(VALU_DEP_1) | instskip(NEXT) | instid1(VALU_DEP_1)
	v_lshlrev_b16 v8, 5, v51
	v_and_b32_e32 v8, 0xffff, v8
	s_delay_alu instid0(VALU_DEP_1) | instskip(NEXT) | instid1(VALU_DEP_1)
	v_add_co_u32 v8, s1, s2, v8
	v_add_co_ci_u32_e64 v9, null, s3, 0, s1
	s_clause 0x1
	global_load_b128 v[140:143], v[8:9], off offset:2400
	global_load_b128 v[144:147], v[8:9], off offset:2416
	v_add_f64 v[8:9], v[25:26], -v[29:30]
	s_waitcnt vmcnt(1) lgkmcnt(1)
	v_mul_f64 v[10:11], v[6:7], v[142:143]
	s_delay_alu instid0(VALU_DEP_1) | instskip(SKIP_1) | instid1(VALU_DEP_1)
	v_fma_f64 v[203:204], v[4:5], v[140:141], -v[10:11]
	v_mul_f64 v[4:5], v[4:5], v[142:143]
	v_fma_f64 v[205:206], v[6:7], v[140:141], v[4:5]
	s_waitcnt vmcnt(0) lgkmcnt(0)
	v_mul_f64 v[4:5], v[2:3], v[146:147]
	s_delay_alu instid0(VALU_DEP_1) | instskip(SKIP_2) | instid1(VALU_DEP_2)
	v_fma_f64 v[207:208], v[0:1], v[144:145], -v[4:5]
	v_mul_f64 v[0:1], v[0:1], v[146:147]
	v_add_f64 v[4:5], v[180:181], v[23:24]
	v_fma_f64 v[209:210], v[2:3], v[144:145], v[0:1]
	v_and_b32_e32 v0, 0xffff, v20
	s_delay_alu instid0(VALU_DEP_1) | instskip(NEXT) | instid1(VALU_DEP_1)
	v_mul_u32_u24_e32 v0, 0xcccd, v0
	v_lshrrev_b32_e32 v0, 23, v0
	s_delay_alu instid0(VALU_DEP_1) | instskip(NEXT) | instid1(VALU_DEP_1)
	v_mul_lo_u16 v0, 0xa0, v0
	v_sub_nc_u16 v60, v20, v0
	s_delay_alu instid0(VALU_DEP_1) | instskip(NEXT) | instid1(VALU_DEP_1)
	v_lshlrev_b16 v0, 5, v60
	v_and_b32_e32 v0, 0xffff, v0
	s_delay_alu instid0(VALU_DEP_1) | instskip(NEXT) | instid1(VALU_DEP_1)
	v_add_co_u32 v0, s1, s2, v0
	v_add_co_ci_u32_e64 v1, null, s3, 0, s1
	v_cmp_lt_u16_e64 s1, 0x45, v22
	global_load_b128 v[148:151], v[0:1], off offset:2400
	s_waitcnt vmcnt(0)
	v_mul_f64 v[2:3], v[154:155], v[150:151]
	s_delay_alu instid0(VALU_DEP_1) | instskip(SKIP_1) | instid1(VALU_DEP_1)
	v_fma_f64 v[211:212], v[152:153], v[148:149], -v[2:3]
	v_mul_f64 v[2:3], v[152:153], v[150:151]
	v_fma_f64 v[213:214], v[154:155], v[148:149], v[2:3]
	global_load_b128 v[152:155], v[0:1], off offset:2416
	s_waitcnt vmcnt(0)
	s_barrier
	buffer_gl0_inv
	v_mul_f64 v[0:1], v[158:159], v[154:155]
	s_delay_alu instid0(VALU_DEP_1) | instskip(SKIP_2) | instid1(VALU_DEP_2)
	v_fma_f64 v[215:216], v[156:157], v[152:153], -v[0:1]
	v_mul_f64 v[0:1], v[156:157], v[154:155]
	v_add_f64 v[156:157], v[168:169], v[193:194]
	v_fma_f64 v[217:218], v[158:159], v[152:153], v[0:1]
	v_add_f64 v[0:1], v[23:24], v[27:28]
	v_add_f64 v[23:24], v[38:39], -v[42:43]
	v_add_f64 v[158:159], v[197:198], -v[201:202]
	s_delay_alu instid0(VALU_DEP_3) | instskip(SKIP_1) | instid1(VALU_DEP_1)
	v_fma_f64 v[6:7], v[0:1], -0.5, v[180:181]
	v_add_f64 v[0:1], v[25:26], v[29:30]
	v_fma_f64 v[10:11], v[0:1], -0.5, v[182:183]
	v_add_f64 v[0:1], v[182:183], v[25:26]
	s_delay_alu instid0(VALU_DEP_1)
	v_add_f64 v[2:3], v[0:1], v[29:30]
	v_add_f64 v[0:1], v[4:5], v[27:28]
	v_fma_f64 v[4:5], v[8:9], s[8:9], v[6:7]
	v_fma_f64 v[8:9], v[8:9], s[14:15], v[6:7]
	;; [unrolled: 1-line block ×4, first 2 shown]
	v_add_f64 v[12:13], v[31:32], v[40:41]
	v_add_f64 v[27:28], v[31:32], -v[40:41]
	ds_store_b128 v132, v[0:3]
	v_add_f64 v[0:1], v[133:134], v[189:190]
	ds_store_b128 v132, v[4:7] offset:2560
	ds_store_b128 v132, v[8:11] offset:5120
	v_cndmask_b32_e64 v4, 0, 0x1e0, s1
	v_fma_f64 v[18:19], v[12:13], -0.5, v[176:177]
	v_add_f64 v[12:13], v[38:39], v[42:43]
	v_fma_f64 v[29:30], v[0:1], -0.5, v[172:173]
	v_add_f64 v[0:1], v[186:187], v[191:192]
	s_delay_alu instid0(VALU_DEP_3)
	v_fma_f64 v[25:26], v[12:13], -0.5, v[178:179]
	v_add_f64 v[12:13], v[178:179], v[38:39]
	v_add_f64 v[37:38], v[186:187], -v[191:192]
	v_add_f64 v[178:179], v[205:206], -v[209:210]
	v_fma_f64 v[31:32], v[0:1], -0.5, v[174:175]
	v_add_f64 v[0:1], v[174:175], v[186:187]
	v_add_f64 v[14:15], v[12:13], v[42:43]
	;; [unrolled: 1-line block ×3, first 2 shown]
	v_fma_f64 v[16:17], v[23:24], s[8:9], v[18:19]
	v_fma_f64 v[23:24], v[23:24], s[14:15], v[18:19]
	;; [unrolled: 1-line block ×4, first 2 shown]
	v_add_f64 v[27:28], v[172:173], v[133:134]
	v_add_f64 v[39:40], v[133:134], -v[189:190]
	v_add_f64 v[41:42], v[197:198], v[201:202]
	v_add_f64 v[2:3], v[0:1], v[191:192]
	s_delay_alu instid0(VALU_DEP_4)
	v_add_f64 v[0:1], v[27:28], v[189:190]
	v_fma_f64 v[27:28], v[37:38], s[8:9], v[29:30]
	v_fma_f64 v[37:38], v[37:38], s[14:15], v[29:30]
	;; [unrolled: 1-line block ×4, first 2 shown]
	v_add_f64 v[31:32], v[193:194], v[199:200]
	v_fma_f64 v[133:134], v[41:42], -0.5, v[170:171]
	v_add_f64 v[41:42], v[170:171], v[197:198]
	v_add_f64 v[170:171], v[193:194], -v[199:200]
	v_add_co_ci_u32_e64 v189, null, 0, 0, s16
	v_add_co_ci_u32_e64 v197, null, 0, 0, s17
	v_fma_f64 v[31:32], v[31:32], -0.5, v[168:169]
	v_add_f64 v[43:44], v[41:42], v[201:202]
	v_add_f64 v[41:42], v[156:157], v[199:200]
	s_delay_alu instid0(VALU_DEP_3)
	v_fma_f64 v[156:157], v[158:159], s[8:9], v[31:32]
	v_fma_f64 v[168:169], v[158:159], s[14:15], v[31:32]
	v_add_f64 v[31:32], v[203:204], v[207:208]
	v_fma_f64 v[158:159], v[170:171], s[14:15], v[133:134]
	v_fma_f64 v[170:171], v[170:171], s[8:9], v[133:134]
	v_add_f64 v[133:134], v[205:206], v[209:210]
	s_delay_alu instid0(VALU_DEP_4) | instskip(SKIP_1) | instid1(VALU_DEP_3)
	v_fma_f64 v[31:32], v[31:32], -0.5, v[164:165]
	v_add_f64 v[164:165], v[164:165], v[203:204]
	v_fma_f64 v[133:134], v[133:134], -0.5, v[166:167]
	v_add_f64 v[166:167], v[166:167], v[205:206]
	s_delay_alu instid0(VALU_DEP_4) | instskip(NEXT) | instid1(VALU_DEP_4)
	v_fma_f64 v[176:177], v[178:179], s[8:9], v[31:32]
	v_add_f64 v[172:173], v[164:165], v[207:208]
	v_add_f64 v[164:165], v[203:204], -v[207:208]
	v_fma_f64 v[180:181], v[178:179], s[14:15], v[31:32]
	v_add_f64 v[31:32], v[211:212], v[215:216]
	v_add_f64 v[174:175], v[166:167], v[209:210]
	v_add_f64 v[166:167], v[213:214], -v[217:218]
	v_fma_f64 v[178:179], v[164:165], s[14:15], v[133:134]
	v_fma_f64 v[182:183], v[164:165], s[8:9], v[133:134]
	v_fma_f64 v[31:32], v[31:32], -0.5, v[160:161]
	v_add_f64 v[133:134], v[213:214], v[217:218]
	v_add_f64 v[160:161], v[160:161], v[211:212]
	s_delay_alu instid0(VALU_DEP_3) | instskip(NEXT) | instid1(VALU_DEP_3)
	v_fma_f64 v[164:165], v[166:167], s[8:9], v[31:32]
	v_fma_f64 v[133:134], v[133:134], -0.5, v[162:163]
	v_add_f64 v[162:163], v[162:163], v[213:214]
	s_delay_alu instid0(VALU_DEP_4) | instskip(SKIP_2) | instid1(VALU_DEP_4)
	v_add_f64 v[224:225], v[160:161], v[215:216]
	v_add_f64 v[160:161], v[211:212], -v[215:216]
	v_fma_f64 v[228:229], v[166:167], s[14:15], v[31:32]
	v_add_f64 v[226:227], v[162:163], v[217:218]
	s_delay_alu instid0(VALU_DEP_3)
	v_fma_f64 v[166:167], v[160:161], s[14:15], v[133:134]
	v_fma_f64 v[230:231], v[160:161], s[8:9], v[133:134]
	v_add_lshl_u32 v133, v50, v4, 4
	ds_store_b128 v133, v[0:3]
	ds_store_b128 v133, v[27:30] offset:2560
	ds_store_b128 v133, v[37:40] offset:5120
	;; [unrolled: 1-line block ×5, first 2 shown]
	v_mad_u16 v0, 0x1e0, v21, v33
	v_add_co_ci_u32_e64 v21, null, 0, 0, s18
	s_delay_alu instid0(VALU_DEP_2) | instskip(NEXT) | instid1(VALU_DEP_1)
	v_and_b32_e32 v0, 0xffff, v0
	v_lshlrev_b32_e32 v0, 4, v0
	ds_store_b128 v0, v[41:44]
	ds_store_b128 v0, v[156:159] offset:2560
	scratch_store_b32 off, v0, off offset:332 ; 4-byte Folded Spill
	ds_store_b128 v0, v[168:171] offset:5120
	v_and_b32_e32 v0, 0xffff, v51
	s_delay_alu instid0(VALU_DEP_1)
	v_lshlrev_b32_e32 v0, 4, v0
	ds_store_b128 v0, v[172:175] offset:15360
	ds_store_b128 v0, v[176:179] offset:17920
	scratch_store_b32 off, v0, off offset:328 ; 4-byte Folded Spill
	ds_store_b128 v0, v[180:183] offset:20480
	v_and_b32_e32 v0, 0xffff, v60
	scratch_store_b32 off, v0, off offset:324 ; 4-byte Folded Spill
	s_and_saveexec_b32 s1, s0
	s_cbranch_execz .LBB0_11
; %bb.10:
	scratch_load_b32 v0, off, off offset:324 ; 4-byte Folded Reload
	s_waitcnt vmcnt(0)
	v_lshlrev_b32_e32 v0, 4, v0
	ds_store_b128 v0, v[224:227] offset:15360
	ds_store_b128 v0, v[164:167] offset:17920
	;; [unrolled: 1-line block ×3, first 2 shown]
.LBB0_11:
	s_or_b32 exec_lo, exec_lo, s1
	s_waitcnt lgkmcnt(0)
	s_waitcnt_vscnt null, 0x0
	s_barrier
	buffer_gl0_inv
	ds_load_b128 v[220:223], v132
	ds_load_b128 v[216:219], v132 offset:1440
	ds_load_b128 v[172:175], v132 offset:15360
	ds_load_b128 v[180:183], v132 offset:16800
	ds_load_b128 v[176:179], v132 offset:9120
	ds_load_b128 v[160:163], v132 offset:10560
	ds_load_b128 v[208:211], v132 offset:2880
	ds_load_b128 v[204:207], v132 offset:4320
	ds_load_b128 v[16:19], v132 offset:18240
	ds_load_b128 v[8:11], v132 offset:19680
	ds_load_b128 v[168:171], v132 offset:7680
	ds_load_b128 v[212:215], v132 offset:5760
	ds_load_b128 v[12:15], v132 offset:12000
	ds_load_b128 v[4:7], v132 offset:13440
	ds_load_b128 v[0:3], v132 offset:21120
	s_and_saveexec_b32 s1, s0
	s_cbranch_execz .LBB0_13
; %bb.12:
	ds_load_b128 v[224:227], v132 offset:7200
	ds_load_b128 v[164:167], v132 offset:14880
	;; [unrolled: 1-line block ×3, first 2 shown]
.LBB0_13:
	s_or_b32 exec_lo, exec_lo, s1
	v_add_co_u32 v23, s1, 0x1000, v184
	s_delay_alu instid0(VALU_DEP_1) | instskip(SKIP_1) | instid1(VALU_DEP_1)
	v_add_co_ci_u32_e64 v24, s1, 0, v185, s1
	v_add_co_u32 v27, s1, 0x1d60, v184
	v_add_co_ci_u32_e64 v28, s1, 0, v185, s1
	global_load_b128 v[156:159], v[23:24], off offset:3424
	v_lshlrev_b32_e32 v31, 5, v36
	s_mov_b32 s9, 0xbfebb67a
	s_delay_alu instid0(VALU_DEP_1) | instskip(NEXT) | instid1(VALU_DEP_1)
	v_add_co_u32 v33, s1, s2, v31
	v_add_co_ci_u32_e64 v39, null, s3, 0, s1
	s_delay_alu instid0(VALU_DEP_2) | instskip(NEXT) | instid1(VALU_DEP_1)
	v_add_co_u32 v31, s1, 0x1000, v33
	v_add_co_ci_u32_e64 v32, s1, 0, v39, s1
	v_add_co_u32 v38, s1, 0x1d60, v33
	s_delay_alu instid0(VALU_DEP_1) | instskip(SKIP_1) | instid1(VALU_DEP_1)
	v_add_co_ci_u32_e64 v39, s1, 0, v39, s1
	v_lshl_add_u32 v33, v22, 5, 0x1680
	v_add_co_u32 v33, s1, s2, v33
	s_delay_alu instid0(VALU_DEP_1) | instskip(NEXT) | instid1(VALU_DEP_2)
	v_add_co_ci_u32_e64 v44, null, s3, 0, s1
	v_add_co_u32 v42, s1, 0x1000, v33
	s_delay_alu instid0(VALU_DEP_1) | instskip(SKIP_3) | instid1(VALU_DEP_2)
	v_add_co_ci_u32_e64 v43, s1, 0, v44, s1
	s_waitcnt vmcnt(0) lgkmcnt(4)
	v_mul_f64 v[23:24], v[170:171], v[158:159]
	v_mul_f64 v[25:26], v[168:169], v[158:159]
	v_fma_f64 v[23:24], v[168:169], v[156:157], -v[23:24]
	s_delay_alu instid0(VALU_DEP_2) | instskip(SKIP_4) | instid1(VALU_DEP_2)
	v_fma_f64 v[25:26], v[170:171], v[156:157], v[25:26]
	global_load_b128 v[168:171], v[27:28], off offset:16
	s_waitcnt vmcnt(0)
	v_mul_f64 v[27:28], v[174:175], v[170:171]
	v_mul_f64 v[29:30], v[172:173], v[170:171]
	v_fma_f64 v[27:28], v[172:173], v[168:169], -v[27:28]
	s_delay_alu instid0(VALU_DEP_2) | instskip(SKIP_4) | instid1(VALU_DEP_2)
	v_fma_f64 v[29:30], v[174:175], v[168:169], v[29:30]
	global_load_b128 v[172:175], v[31:32], off offset:3424
	s_waitcnt vmcnt(0)
	;; [unrolled: 7-line block ×4, first 2 shown]
	v_mul_f64 v[42:43], v[162:163], v[182:183]
	v_mul_f64 v[50:51], v[160:161], v[182:183]
	v_fma_f64 v[42:43], v[160:161], v[180:181], -v[42:43]
	v_add_co_u32 v160, s1, 0x1d60, v33
	s_delay_alu instid0(VALU_DEP_1) | instskip(NEXT) | instid1(VALU_DEP_4)
	v_add_co_ci_u32_e64 v161, s1, 0, v44, s1
	v_fma_f64 v[50:51], v[162:163], v[180:181], v[50:51]
	global_load_b128 v[184:187], v[160:161], off offset:16
	s_waitcnt vmcnt(0)
	v_mul_f64 v[160:161], v[18:19], v[186:187]
	s_delay_alu instid0(VALU_DEP_1) | instskip(SKIP_1) | instid1(VALU_DEP_1)
	v_fma_f64 v[160:161], v[16:17], v[184:185], -v[160:161]
	v_mul_f64 v[16:17], v[16:17], v[186:187]
	v_fma_f64 v[162:163], v[18:19], v[184:185], v[16:17]
	v_lshlrev_b64 v[16:17], 5, v[188:189]
	s_delay_alu instid0(VALU_DEP_1) | instskip(NEXT) | instid1(VALU_DEP_1)
	v_add_co_u32 v18, s1, s2, v16
	v_add_co_ci_u32_e64 v19, s1, s3, v17, s1
	s_delay_alu instid0(VALU_DEP_2) | instskip(NEXT) | instid1(VALU_DEP_1)
	v_add_co_u32 v16, s1, 0x1000, v18
	v_add_co_ci_u32_e64 v17, s1, 0, v19, s1
	global_load_b128 v[188:191], v[16:17], off offset:3424
	s_waitcnt vmcnt(0) lgkmcnt(2)
	v_mul_f64 v[16:17], v[14:15], v[190:191]
	s_delay_alu instid0(VALU_DEP_1) | instskip(SKIP_2) | instid1(VALU_DEP_2)
	v_fma_f64 v[232:233], v[12:13], v[188:189], -v[16:17]
	v_mul_f64 v[12:13], v[12:13], v[190:191]
	v_add_f64 v[16:17], v[216:217], v[31:32]
	v_fma_f64 v[234:235], v[14:15], v[188:189], v[12:13]
	v_add_co_u32 v12, s1, 0x1d60, v18
	s_delay_alu instid0(VALU_DEP_1) | instskip(SKIP_3) | instid1(VALU_DEP_1)
	v_add_co_ci_u32_e64 v13, s1, 0, v19, s1
	global_load_b128 v[192:195], v[12:13], off offset:16
	s_waitcnt vmcnt(0)
	v_mul_f64 v[12:13], v[10:11], v[194:195]
	v_fma_f64 v[236:237], v[8:9], v[192:193], -v[12:13]
	v_mul_f64 v[8:9], v[8:9], v[194:195]
	v_add_f64 v[12:13], v[23:24], -v[27:28]
	s_delay_alu instid0(VALU_DEP_2) | instskip(SKIP_1) | instid1(VALU_DEP_1)
	v_fma_f64 v[238:239], v[10:11], v[192:193], v[8:9]
	v_lshlrev_b64 v[8:9], 5, v[196:197]
	v_add_co_u32 v10, s1, s2, v8
	s_delay_alu instid0(VALU_DEP_1) | instskip(NEXT) | instid1(VALU_DEP_2)
	v_add_co_ci_u32_e64 v11, s1, s3, v9, s1
	v_add_co_u32 v8, s1, 0x1000, v10
	s_delay_alu instid0(VALU_DEP_1) | instskip(SKIP_3) | instid1(VALU_DEP_1)
	v_add_co_ci_u32_e64 v9, s1, 0, v11, s1
	global_load_b128 v[196:199], v[8:9], off offset:3424
	s_waitcnt vmcnt(0) lgkmcnt(1)
	v_mul_f64 v[8:9], v[6:7], v[198:199]
	v_fma_f64 v[240:241], v[4:5], v[196:197], -v[8:9]
	v_mul_f64 v[4:5], v[4:5], v[198:199]
	v_add_f64 v[8:9], v[25:26], -v[29:30]
	s_delay_alu instid0(VALU_DEP_2) | instskip(SKIP_1) | instid1(VALU_DEP_1)
	v_fma_f64 v[242:243], v[6:7], v[196:197], v[4:5]
	v_add_co_u32 v4, s1, 0x1d60, v10
	v_add_co_ci_u32_e64 v5, s1, 0, v11, s1
	global_load_b128 v[200:203], v[4:5], off offset:16
	s_waitcnt vmcnt(0) lgkmcnt(0)
	v_mul_f64 v[4:5], v[2:3], v[202:203]
	s_delay_alu instid0(VALU_DEP_1) | instskip(SKIP_1) | instid1(VALU_DEP_1)
	v_fma_f64 v[244:245], v[0:1], v[200:201], -v[4:5]
	v_mul_f64 v[0:1], v[0:1], v[202:203]
	v_fma_f64 v[246:247], v[2:3], v[200:201], v[0:1]
	v_add_co_u32 v0, s1, 0xffffffe2, v22
	s_delay_alu instid0(VALU_DEP_1) | instskip(NEXT) | instid1(VALU_DEP_2)
	v_add_co_ci_u32_e64 v1, null, 0, -1, s1
	v_cndmask_b32_e64 v0, v0, v20, s0
	s_delay_alu instid0(VALU_DEP_2) | instskip(NEXT) | instid1(VALU_DEP_1)
	v_cndmask_b32_e64 v1, v1, v21, s0
	v_lshlrev_b64 v[0:1], 5, v[0:1]
	s_delay_alu instid0(VALU_DEP_1) | instskip(NEXT) | instid1(VALU_DEP_1)
	v_add_co_u32 v2, s1, s2, v0
	v_add_co_ci_u32_e64 v3, s1, s3, v1, s1
	s_mov_b32 s2, 0xe8584caa
	s_delay_alu instid0(VALU_DEP_2) | instskip(NEXT) | instid1(VALU_DEP_1)
	v_add_co_u32 v0, s1, 0x1000, v2
	v_add_co_ci_u32_e64 v1, s1, 0, v3, s1
	s_mov_b32 s3, 0x3febb67a
	s_mov_b32 s8, s2
	global_load_b128 v[4:7], v[0:1], off offset:3424
	s_waitcnt vmcnt(0)
	v_mul_f64 v[0:1], v[166:167], v[6:7]
	scratch_store_b128 off, v[4:7], off offset:340 ; 16-byte Folded Spill
	v_fma_f64 v[20:21], v[164:165], v[4:5], -v[0:1]
	v_mul_f64 v[0:1], v[164:165], v[6:7]
	s_delay_alu instid0(VALU_DEP_1) | instskip(SKIP_1) | instid1(VALU_DEP_1)
	v_fma_f64 v[164:165], v[166:167], v[4:5], v[0:1]
	v_add_co_u32 v0, s1, 0x1d60, v2
	v_add_co_ci_u32_e64 v1, s1, 0, v3, s1
	global_load_b128 v[2:5], v[0:1], off offset:16
	s_waitcnt vmcnt(0)
	v_mul_f64 v[0:1], v[230:231], v[4:5]
	scratch_store_b128 off, v[2:5], off offset:356 ; 16-byte Folded Spill
	v_fma_f64 v[166:167], v[228:229], v[2:3], -v[0:1]
	v_mul_f64 v[0:1], v[228:229], v[4:5]
	v_add_f64 v[4:5], v[220:221], v[23:24]
	s_delay_alu instid0(VALU_DEP_2) | instskip(SKIP_2) | instid1(VALU_DEP_2)
	v_fma_f64 v[228:229], v[230:231], v[2:3], v[0:1]
	v_add_f64 v[0:1], v[23:24], v[27:28]
	v_add_f64 v[23:24], v[36:37], -v[40:41]
	v_fma_f64 v[6:7], v[0:1], -0.5, v[220:221]
	v_add_f64 v[0:1], v[25:26], v[29:30]
	s_delay_alu instid0(VALU_DEP_1) | instskip(SKIP_1) | instid1(VALU_DEP_1)
	v_fma_f64 v[10:11], v[0:1], -0.5, v[222:223]
	v_add_f64 v[0:1], v[222:223], v[25:26]
	v_add_f64 v[2:3], v[0:1], v[29:30]
	;; [unrolled: 1-line block ×3, first 2 shown]
	v_fma_f64 v[4:5], v[8:9], s[2:3], v[6:7]
	v_fma_f64 v[8:9], v[8:9], s[8:9], v[6:7]
	;; [unrolled: 1-line block ×4, first 2 shown]
	v_add_f64 v[12:13], v[31:32], v[38:39]
	v_add_f64 v[27:28], v[31:32], -v[38:39]
	s_delay_alu instid0(VALU_DEP_2) | instskip(SKIP_1) | instid1(VALU_DEP_1)
	v_fma_f64 v[18:19], v[12:13], -0.5, v[216:217]
	v_add_f64 v[12:13], v[36:37], v[40:41]
	v_fma_f64 v[25:26], v[12:13], -0.5, v[218:219]
	v_add_f64 v[12:13], v[218:219], v[36:37]
	v_add_f64 v[36:37], v[208:209], v[42:43]
	v_add_f64 v[218:219], v[240:241], -v[244:245]
	s_delay_alu instid0(VALU_DEP_3)
	v_add_f64 v[14:15], v[12:13], v[40:41]
	v_add_f64 v[12:13], v[16:17], v[38:39]
	v_fma_f64 v[16:17], v[23:24], s[2:3], v[18:19]
	v_fma_f64 v[23:24], v[23:24], s[8:9], v[18:19]
	;; [unrolled: 1-line block ×4, first 2 shown]
	v_add_f64 v[27:28], v[42:43], v[160:161]
	v_add_f64 v[38:39], v[50:51], -v[162:163]
	v_add_f64 v[42:43], v[42:43], -v[160:161]
	s_delay_alu instid0(VALU_DEP_3) | instskip(SKIP_1) | instid1(VALU_DEP_2)
	v_fma_f64 v[31:32], v[27:28], -0.5, v[208:209]
	v_add_f64 v[27:28], v[50:51], v[162:163]
	v_fma_f64 v[40:41], v[38:39], s[8:9], v[31:32]
	s_delay_alu instid0(VALU_DEP_2) | instskip(SKIP_3) | instid1(VALU_DEP_3)
	v_fma_f64 v[216:217], v[27:28], -0.5, v[210:211]
	v_add_f64 v[27:28], v[210:211], v[50:51]
	v_add_f64 v[50:51], v[234:235], v[238:239]
	v_add_f64 v[210:211], v[232:233], -v[236:237]
	v_add_f64 v[29:30], v[27:28], v[162:163]
	v_add_f64 v[27:28], v[36:37], v[160:161]
	v_fma_f64 v[36:37], v[38:39], s[2:3], v[31:32]
	v_add_f64 v[31:32], v[232:233], v[236:237]
	v_fma_f64 v[50:51], v[50:51], -0.5, v[206:207]
	v_add_f64 v[160:161], v[206:207], v[234:235]
	v_add_f64 v[206:207], v[234:235], -v[238:239]
	v_fma_f64 v[38:39], v[42:43], s[8:9], v[216:217]
	v_fma_f64 v[42:43], v[42:43], s[2:3], v[216:217]
	v_add_f64 v[216:217], v[242:243], -v[246:247]
	v_fma_f64 v[31:32], v[31:32], -0.5, v[204:205]
	v_add_f64 v[204:205], v[204:205], v[232:233]
	v_add_f64 v[162:163], v[160:161], v[238:239]
	s_delay_alu instid0(VALU_DEP_3) | instskip(NEXT) | instid1(VALU_DEP_3)
	v_fma_f64 v[208:209], v[206:207], s[8:9], v[31:32]
	v_add_f64 v[160:161], v[204:205], v[236:237]
	v_fma_f64 v[204:205], v[206:207], s[2:3], v[31:32]
	v_fma_f64 v[206:207], v[210:211], s[8:9], v[50:51]
	;; [unrolled: 1-line block ×3, first 2 shown]
	v_add_f64 v[31:32], v[240:241], v[244:245]
	v_add_f64 v[50:51], v[242:243], v[246:247]
	s_delay_alu instid0(VALU_DEP_2) | instskip(NEXT) | instid1(VALU_DEP_2)
	v_fma_f64 v[31:32], v[31:32], -0.5, v[212:213]
	v_fma_f64 v[50:51], v[50:51], -0.5, v[214:215]
	v_add_f64 v[214:215], v[214:215], v[242:243]
	v_add_f64 v[212:213], v[212:213], v[240:241]
	s_delay_alu instid0(VALU_DEP_4)
	v_fma_f64 v[220:221], v[216:217], s[2:3], v[31:32]
	v_fma_f64 v[216:217], v[216:217], s[8:9], v[31:32]
	;; [unrolled: 1-line block ×4, first 2 shown]
	v_add_f64 v[31:32], v[20:21], v[166:167]
	v_add_f64 v[50:51], v[164:165], v[228:229]
	;; [unrolled: 1-line block ×4, first 2 shown]
	ds_store_b128 v132, v[0:3]
	ds_store_b128 v132, v[12:15] offset:1440
	ds_store_b128 v132, v[8:11] offset:15360
	;; [unrolled: 1-line block ×14, first 2 shown]
	v_fma_f64 v[31:32], v[31:32], -0.5, v[224:225]
	v_fma_f64 v[50:51], v[50:51], -0.5, v[226:227]
	v_add_f64 v[226:227], v[226:227], v[164:165]
	v_add_f64 v[224:225], v[224:225], v[20:21]
	v_add_f64 v[164:165], v[164:165], -v[228:229]
	v_add_f64 v[20:21], v[20:21], -v[166:167]
	s_delay_alu instid0(VALU_DEP_4) | instskip(NEXT) | instid1(VALU_DEP_4)
	v_add_f64 v[230:231], v[226:227], v[228:229]
	v_add_f64 v[228:229], v[224:225], v[166:167]
	s_delay_alu instid0(VALU_DEP_4)
	v_fma_f64 v[224:225], v[164:165], s[2:3], v[31:32]
	v_fma_f64 v[232:233], v[164:165], s[8:9], v[31:32]
	;; [unrolled: 1-line block ×4, first 2 shown]
	s_and_saveexec_b32 s1, s0
	s_cbranch_execz .LBB0_15
; %bb.14:
	ds_store_b128 v132, v[228:231] offset:7200
	ds_store_b128 v132, v[224:227] offset:14880
	;; [unrolled: 1-line block ×3, first 2 shown]
.LBB0_15:
	s_or_b32 exec_lo, exec_lo, s1
	s_add_u32 s2, s12, 0x5a00
	s_addc_u32 s3, s13, 0
	s_waitcnt lgkmcnt(0)
	s_waitcnt_vscnt null, 0x0
	s_barrier
	buffer_gl0_inv
	global_load_b128 v[2:5], v35, s[2:3]
	v_lshlrev_b32_e32 v0, 4, v22
	s_clause 0x1
	global_load_b128 v[8:11], v0, s[2:3]
	global_load_b128 v[12:15], v0, s[2:3] offset:2304
	v_add_co_u32 v0, s1, s2, v0
	s_delay_alu instid0(VALU_DEP_1) | instskip(NEXT) | instid1(VALU_DEP_2)
	v_add_co_ci_u32_e64 v1, null, s3, 0, s1
	v_add_co_u32 v6, s1, 0x1000, v0
	s_delay_alu instid0(VALU_DEP_1)
	v_add_co_ci_u32_e64 v7, s1, 0, v1, s1
	s_clause 0x1
	global_load_b128 v[16:19], v[6:7], off offset:512
	global_load_b128 v[23:26], v[6:7], off offset:2816
	ds_load_b128 v[27:30], v132 offset:18432
	ds_load_b128 v[39:42], v132 offset:11520
	;; [unrolled: 1-line block ×5, first 2 shown]
	s_waitcnt vmcnt(4) lgkmcnt(4)
	v_mul_f64 v[20:21], v[29:30], v[4:5]
	v_mul_f64 v[4:5], v[27:28], v[4:5]
	s_delay_alu instid0(VALU_DEP_2) | instskip(NEXT) | instid1(VALU_DEP_2)
	v_fma_f64 v[27:28], v[27:28], v[2:3], -v[20:21]
	v_fma_f64 v[29:30], v[29:30], v[2:3], v[4:5]
	ds_load_b128 v[2:5], v132
	s_waitcnt vmcnt(3) lgkmcnt(0)
	v_mul_f64 v[20:21], v[4:5], v[10:11]
	v_mul_f64 v[10:11], v[2:3], v[10:11]
	s_delay_alu instid0(VALU_DEP_2) | instskip(NEXT) | instid1(VALU_DEP_2)
	v_fma_f64 v[35:36], v[2:3], v[8:9], -v[20:21]
	v_fma_f64 v[37:38], v[4:5], v[8:9], v[10:11]
	ds_load_b128 v[2:5], v132 offset:2304
	s_waitcnt vmcnt(2) lgkmcnt(0)
	v_mul_f64 v[8:9], v[4:5], v[14:15]
	v_mul_f64 v[14:15], v[2:3], v[14:15]
	s_delay_alu instid0(VALU_DEP_2) | instskip(NEXT) | instid1(VALU_DEP_2)
	v_fma_f64 v[10:11], v[2:3], v[12:13], -v[8:9]
	v_fma_f64 v[12:13], v[4:5], v[12:13], v[14:15]
	ds_load_b128 v[2:5], v132 offset:4608
	;; [unrolled: 7-line block ×3, first 2 shown]
	s_waitcnt vmcnt(0) lgkmcnt(0)
	v_mul_f64 v[8:9], v[4:5], v[25:26]
	v_mul_f64 v[20:21], v[2:3], v[25:26]
	s_delay_alu instid0(VALU_DEP_2) | instskip(SKIP_1) | instid1(VALU_DEP_1)
	v_fma_f64 v[18:19], v[2:3], v[23:24], -v[8:9]
	v_add_co_u32 v8, s1, 0x2000, v0
	v_add_co_ci_u32_e64 v9, s1, 0, v1, s1
	s_delay_alu instid0(VALU_DEP_4)
	v_fma_f64 v[20:21], v[4:5], v[23:24], v[20:21]
	ds_load_b128 v[23:26], v132 offset:9216
	global_load_b128 v[2:5], v[8:9], off offset:1024
	s_waitcnt vmcnt(0) lgkmcnt(0)
	v_mul_f64 v[31:32], v[25:26], v[4:5]
	v_mul_f64 v[4:5], v[23:24], v[4:5]
	s_delay_alu instid0(VALU_DEP_2) | instskip(NEXT) | instid1(VALU_DEP_2)
	v_fma_f64 v[23:24], v[23:24], v[2:3], -v[31:32]
	v_fma_f64 v[25:26], v[25:26], v[2:3], v[4:5]
	global_load_b128 v[2:5], v[8:9], off offset:3328
	s_waitcnt vmcnt(0)
	v_mul_f64 v[31:32], v[41:42], v[4:5]
	v_mul_f64 v[4:5], v[39:40], v[4:5]
	s_delay_alu instid0(VALU_DEP_2) | instskip(NEXT) | instid1(VALU_DEP_2)
	v_fma_f64 v[39:40], v[39:40], v[2:3], -v[31:32]
	v_fma_f64 v[41:42], v[41:42], v[2:3], v[4:5]
	v_add_co_u32 v4, s1, 0x3000, v0
	s_delay_alu instid0(VALU_DEP_1)
	v_add_co_ci_u32_e64 v5, s1, 0, v1, s1
	s_clause 0x1
	global_load_b128 v[160:163], v[4:5], off offset:1536
	global_load_b128 v[236:239], v[4:5], off offset:3840
	s_waitcnt vmcnt(1)
	v_mul_f64 v[2:3], v[166:167], v[162:163]
	v_mul_f64 v[31:32], v[164:165], v[162:163]
	s_delay_alu instid0(VALU_DEP_2) | instskip(SKIP_2) | instid1(VALU_DEP_3)
	v_fma_f64 v[162:163], v[164:165], v[160:161], -v[2:3]
	s_waitcnt vmcnt(0)
	v_mul_f64 v[2:3], v[242:243], v[238:239]
	v_fma_f64 v[164:165], v[166:167], v[160:161], v[31:32]
	v_mul_f64 v[31:32], v[240:241], v[238:239]
	s_delay_alu instid0(VALU_DEP_3) | instskip(SKIP_1) | instid1(VALU_DEP_1)
	v_fma_f64 v[238:239], v[240:241], v[236:237], -v[2:3]
	v_add_co_u32 v2, s1, 0x5000, v0
	v_add_co_ci_u32_e64 v3, s1, 0, v1, s1
	s_delay_alu instid0(VALU_DEP_4) | instskip(SKIP_4) | instid1(VALU_DEP_2)
	v_fma_f64 v[240:241], v[242:243], v[236:237], v[31:32]
	global_load_b128 v[242:245], v[2:3], off offset:256
	s_waitcnt vmcnt(0)
	v_mul_f64 v[31:32], v[248:249], v[244:245]
	v_mul_f64 v[43:44], v[246:247], v[244:245]
	v_fma_f64 v[244:245], v[246:247], v[242:243], -v[31:32]
	s_delay_alu instid0(VALU_DEP_2)
	v_fma_f64 v[246:247], v[248:249], v[242:243], v[43:44]
	ds_store_b128 v132, v[27:30] offset:18432
	ds_store_b128 v132, v[35:38]
	ds_store_b128 v132, v[10:13] offset:2304
	ds_store_b128 v132, v[14:17] offset:4608
	;; [unrolled: 1-line block ×8, first 2 shown]
	s_and_saveexec_b32 s2, vcc_lo
	s_cbranch_execz .LBB0_17
; %bb.16:
	s_clause 0x4
	global_load_b128 v[10:13], v[0:1], off offset:1440
	global_load_b128 v[14:17], v[0:1], off offset:3744
	;; [unrolled: 1-line block ×5, first 2 shown]
	ds_load_b128 v[27:30], v132 offset:1440
	ds_load_b128 v[35:38], v132 offset:12960
	v_add_co_u32 v0, s1, 0x4000, v0
	s_delay_alu instid0(VALU_DEP_1)
	v_add_co_ci_u32_e64 v1, s1, 0, v1, s1
	ds_load_b128 v[39:42], v132 offset:15264
	ds_load_b128 v[160:163], v132 offset:17568
	;; [unrolled: 1-line block ×4, first 2 shown]
	s_waitcnt vmcnt(4) lgkmcnt(5)
	v_mul_f64 v[31:32], v[29:30], v[12:13]
	v_mul_f64 v[12:13], v[27:28], v[12:13]
	s_delay_alu instid0(VALU_DEP_2) | instskip(NEXT) | instid1(VALU_DEP_2)
	v_fma_f64 v[27:28], v[27:28], v[10:11], -v[31:32]
	v_fma_f64 v[29:30], v[29:30], v[10:11], v[12:13]
	ds_load_b128 v[10:13], v132 offset:3744
	s_waitcnt vmcnt(3) lgkmcnt(0)
	v_mul_f64 v[31:32], v[12:13], v[16:17]
	v_mul_f64 v[16:17], v[10:11], v[16:17]
	s_delay_alu instid0(VALU_DEP_2) | instskip(NEXT) | instid1(VALU_DEP_2)
	v_fma_f64 v[10:11], v[10:11], v[14:15], -v[31:32]
	v_fma_f64 v[12:13], v[12:13], v[14:15], v[16:17]
	ds_load_b128 v[14:17], v132 offset:6048
	;; [unrolled: 7-line block ×4, first 2 shown]
	s_waitcnt vmcnt(0) lgkmcnt(0)
	v_mul_f64 v[31:32], v[25:26], v[8:9]
	v_mul_f64 v[8:9], v[23:24], v[8:9]
	s_delay_alu instid0(VALU_DEP_2) | instskip(NEXT) | instid1(VALU_DEP_2)
	v_fma_f64 v[23:24], v[23:24], v[6:7], -v[31:32]
	v_fma_f64 v[25:26], v[25:26], v[6:7], v[8:9]
	global_load_b128 v[6:9], v[4:5], off offset:672
	s_waitcnt vmcnt(0)
	v_mul_f64 v[31:32], v[37:38], v[8:9]
	v_mul_f64 v[8:9], v[35:36], v[8:9]
	s_delay_alu instid0(VALU_DEP_2) | instskip(NEXT) | instid1(VALU_DEP_2)
	v_fma_f64 v[35:36], v[35:36], v[6:7], -v[31:32]
	v_fma_f64 v[37:38], v[37:38], v[6:7], v[8:9]
	global_load_b128 v[4:7], v[4:5], off offset:2976
	s_waitcnt vmcnt(0)
	;; [unrolled: 7-line block ×4, first 2 shown]
	v_mul_f64 v[0:1], v[166:167], v[162:163]
	v_mul_f64 v[4:5], v[164:165], v[162:163]
	s_delay_alu instid0(VALU_DEP_2)
	v_fma_f64 v[162:163], v[164:165], v[160:161], -v[0:1]
	global_load_b128 v[0:3], v[2:3], off offset:1696
	v_fma_f64 v[164:165], v[166:167], v[160:161], v[4:5]
	s_waitcnt vmcnt(0)
	v_mul_f64 v[4:5], v[238:239], v[2:3]
	v_mul_f64 v[31:32], v[236:237], v[2:3]
	s_delay_alu instid0(VALU_DEP_2) | instskip(NEXT) | instid1(VALU_DEP_2)
	v_fma_f64 v[2:3], v[236:237], v[0:1], -v[4:5]
	v_fma_f64 v[4:5], v[238:239], v[0:1], v[31:32]
	ds_store_b128 v132, v[27:30] offset:1440
	ds_store_b128 v132, v[10:13] offset:3744
	;; [unrolled: 1-line block ×10, first 2 shown]
.LBB0_17:
	s_or_b32 exec_lo, exec_lo, s2
	s_waitcnt lgkmcnt(0)
	s_barrier
	buffer_gl0_inv
	ds_load_b128 v[4:7], v132
	ds_load_b128 v[0:3], v132 offset:2304
	ds_load_b128 v[248:251], v132 offset:4608
	;; [unrolled: 1-line block ×9, first 2 shown]
	s_and_saveexec_b32 s1, vcc_lo
	s_cbranch_execz .LBB0_19
; %bb.18:
	ds_load_b128 v[204:207], v132 offset:1440
	ds_load_b128 v[208:211], v132 offset:3744
	;; [unrolled: 1-line block ×10, first 2 shown]
.LBB0_19:
	s_or_b32 exec_lo, exec_lo, s1
	s_waitcnt lgkmcnt(7)
	v_add_f64 v[23:24], v[6:7], v[250:251]
	v_add_f64 v[20:21], v[4:5], v[248:249]
	s_waitcnt lgkmcnt(3)
	v_add_f64 v[27:28], v[254:255], -v[18:19]
	v_add_f64 v[35:36], v[254:255], v[18:19]
	s_waitcnt lgkmcnt(1)
	v_add_f64 v[43:44], v[250:251], -v[246:247]
	v_add_f64 v[162:163], v[250:251], v[246:247]
	v_add_f64 v[166:167], v[246:247], -v[18:19]
	v_add_f64 v[25:26], v[252:253], v[16:17]
	v_add_f64 v[37:38], v[252:253], -v[16:17]
	v_add_f64 v[39:40], v[250:251], -v[254:255]
	;; [unrolled: 1-line block ×3, first 2 shown]
	v_add_f64 v[50:51], v[248:249], v[244:245]
	v_add_f64 v[160:161], v[248:249], -v[244:245]
	v_add_f64 v[164:165], v[244:245], -v[16:17]
	;; [unrolled: 1-line block ×4, first 2 shown]
	v_add_f64 v[248:249], v[240:241], v[8:9]
	v_add_f64 v[250:251], v[236:237], -v[240:241]
	v_add_f64 v[60:61], v[240:241], -v[8:9]
	;; [unrolled: 1-line block ×4, first 2 shown]
	s_waitcnt lgkmcnt(0)
	v_add_f64 v[66:67], v[238:239], -v[14:15]
	v_add_f64 v[68:69], v[236:237], -v[12:13]
	v_add_f64 v[70:71], v[238:239], v[14:15]
	s_mov_b32 s18, 0x134454ff
	s_mov_b32 s19, 0xbfee6f0e
	;; [unrolled: 1-line block ×4, first 2 shown]
	v_add_f64 v[134:135], v[242:243], -v[10:11]
	s_mov_b32 s20, 0x4755a5e
	s_mov_b32 s21, 0xbfe2cf23
	;; [unrolled: 1-line block ×9, first 2 shown]
	v_add_f64 v[23:24], v[23:24], v[254:255]
	v_add_f64 v[20:21], v[20:21], v[252:253]
	v_add_f64 v[254:255], v[242:243], v[10:11]
	v_add_f64 v[252:253], v[240:241], -v[236:237]
	v_fma_f64 v[35:36], v[35:36], -0.5, v[6:7]
	v_fma_f64 v[6:7], v[162:163], -0.5, v[6:7]
	s_mov_b32 s16, s8
	v_fma_f64 v[25:26], v[25:26], -0.5, v[4:5]
	s_mov_b32 s15, 0xbfe9e377
	s_mov_b32 s14, s22
	v_fma_f64 v[4:5], v[50:51], -0.5, v[4:5]
	s_barrier
	buffer_gl0_inv
	v_fma_f64 v[162:163], v[248:249], -0.5, v[0:1]
	v_fma_f64 v[70:71], v[70:71], -0.5, v[2:3]
	v_add_f64 v[23:24], v[23:24], v[18:19]
	v_add_f64 v[20:21], v[20:21], v[16:17]
	v_add_f64 v[18:19], v[18:19], -v[246:247]
	v_add_f64 v[16:17], v[16:17], -v[244:245]
	v_fma_f64 v[50:51], v[254:255], -0.5, v[2:3]
	v_add_f64 v[23:24], v[23:24], v[246:247]
	v_add_f64 v[246:247], v[2:3], v[238:239]
	;; [unrolled: 1-line block ×4, first 2 shown]
	v_fma_f64 v[2:3], v[66:67], s[18:19], v[162:163]
	v_add_f64 v[16:17], v[31:32], v[16:17]
	v_add_f64 v[18:19], v[41:42], v[18:19]
	;; [unrolled: 1-line block ×5, first 2 shown]
	v_fma_f64 v[2:3], v[134:135], s[20:21], v[2:3]
	s_delay_alu instid0(VALU_DEP_4)
	v_add_f64 v[238:239], v[246:247], v[10:11]
	v_add_f64 v[246:247], v[14:15], -v[10:11]
	v_add_f64 v[236:237], v[244:245], v[8:9]
	v_add_f64 v[10:11], v[10:11], -v[14:15]
	v_fma_f64 v[72:73], v[240:241], -0.5, v[0:1]
	v_fma_f64 v[0:1], v[68:69], s[12:13], v[50:51]
	v_add_f64 v[244:245], v[12:13], -v[8:9]
	v_add_f64 v[8:9], v[8:9], -v[12:13]
	v_add_f64 v[14:15], v[238:239], v[14:15]
	v_add_f64 v[12:13], v[236:237], v[12:13]
	;; [unrolled: 1-line block ×3, first 2 shown]
	v_fma_f64 v[0:1], v[60:61], s[2:3], v[0:1]
	v_add_f64 v[8:9], v[252:253], v[8:9]
	v_add_f64 v[238:239], v[23:24], v[14:15]
	v_add_f64 v[242:243], v[23:24], -v[14:15]
	v_add_f64 v[23:24], v[62:63], v[246:247]
	v_add_f64 v[236:237], v[20:21], v[12:13]
	v_add_f64 v[240:241], v[20:21], -v[12:13]
	v_add_f64 v[20:21], v[250:251], v[244:245]
	v_add_f64 v[12:13], v[29:30], v[164:165]
	;; [unrolled: 1-line block ×3, first 2 shown]
	v_fma_f64 v[39:40], v[160:161], s[12:13], v[35:36]
	v_fma_f64 v[0:1], v[23:24], s[8:9], v[0:1]
	;; [unrolled: 1-line block ×3, first 2 shown]
	s_delay_alu instid0(VALU_DEP_3) | instskip(NEXT) | instid1(VALU_DEP_3)
	v_fma_f64 v[39:40], v[37:38], s[2:3], v[39:40]
	v_mul_f64 v[29:30], v[0:1], s[20:21]
	s_delay_alu instid0(VALU_DEP_2) | instskip(NEXT) | instid1(VALU_DEP_2)
	v_fma_f64 v[39:40], v[14:15], s[8:9], v[39:40]
	v_fma_f64 v[29:30], v[2:3], s[22:23], v[29:30]
	v_mul_f64 v[2:3], v[2:3], s[2:3]
	s_delay_alu instid0(VALU_DEP_1) | instskip(SKIP_1) | instid1(VALU_DEP_2)
	v_fma_f64 v[0:1], v[0:1], s[22:23], v[2:3]
	v_fma_f64 v[2:3], v[43:44], s[18:19], v[25:26]
	v_add_f64 v[250:251], v[39:40], v[0:1]
	s_delay_alu instid0(VALU_DEP_2) | instskip(SKIP_2) | instid1(VALU_DEP_3)
	v_fma_f64 v[2:3], v[27:28], s[20:21], v[2:3]
	v_add_f64 v[246:247], v[39:40], -v[0:1]
	v_fma_f64 v[0:1], v[60:61], s[18:19], v[70:71]
	v_fma_f64 v[2:3], v[12:13], s[8:9], v[2:3]
	s_delay_alu instid0(VALU_DEP_2) | instskip(NEXT) | instid1(VALU_DEP_2)
	v_fma_f64 v[0:1], v[68:69], s[2:3], v[0:1]
	v_add_f64 v[248:249], v[2:3], v[29:30]
	v_add_f64 v[244:245], v[2:3], -v[29:30]
	v_fma_f64 v[2:3], v[134:135], s[12:13], v[72:73]
	s_delay_alu instid0(VALU_DEP_4) | instskip(NEXT) | instid1(VALU_DEP_2)
	v_fma_f64 v[0:1], v[10:11], s[8:9], v[0:1]
	v_fma_f64 v[2:3], v[66:67], s[20:21], v[2:3]
	s_delay_alu instid0(VALU_DEP_2) | instskip(SKIP_1) | instid1(VALU_DEP_3)
	v_mul_f64 v[29:30], v[0:1], s[18:19]
	v_mul_f64 v[0:1], v[0:1], s[8:9]
	v_fma_f64 v[2:3], v[8:9], s[8:9], v[2:3]
	s_delay_alu instid0(VALU_DEP_1)
	v_fma_f64 v[31:32], v[2:3], s[12:13], v[0:1]
	v_fma_f64 v[0:1], v[27:28], s[12:13], v[4:5]
	;; [unrolled: 1-line block ×8, first 2 shown]
	s_delay_alu instid0(VALU_DEP_4) | instskip(NEXT) | instid1(VALU_DEP_4)
	v_fma_f64 v[2:3], v[160:161], s[2:3], v[2:3]
	v_fma_f64 v[6:7], v[160:161], s[20:21], v[6:7]
	s_delay_alu instid0(VALU_DEP_4) | instskip(NEXT) | instid1(VALU_DEP_4)
	v_fma_f64 v[39:40], v[16:17], s[8:9], v[0:1]
	v_fma_f64 v[4:5], v[16:17], s[8:9], v[4:5]
	;; [unrolled: 1-line block ×5, first 2 shown]
	v_add_f64 v[0:1], v[39:40], v[29:30]
	v_add_f64 v[252:253], v[39:40], -v[29:30]
	v_fma_f64 v[16:17], v[68:69], s[20:21], v[16:17]
	v_fma_f64 v[29:30], v[66:67], s[12:13], v[162:163]
	v_add_f64 v[2:3], v[41:42], v[31:32]
	v_add_f64 v[254:255], v[41:42], -v[31:32]
	s_delay_alu instid0(VALU_DEP_4) | instskip(SKIP_1) | instid1(VALU_DEP_1)
	v_fma_f64 v[10:11], v[10:11], s[8:9], v[16:17]
	v_fma_f64 v[16:17], v[134:135], s[18:19], v[72:73]
	;; [unrolled: 1-line block ×3, first 2 shown]
	s_delay_alu instid0(VALU_DEP_1) | instskip(NEXT) | instid1(VALU_DEP_4)
	v_fma_f64 v[8:9], v[8:9], s[8:9], v[16:17]
	v_mul_f64 v[16:17], v[10:11], s[18:19]
	v_mul_f64 v[10:11], v[10:11], s[16:17]
	s_delay_alu instid0(VALU_DEP_2) | instskip(NEXT) | instid1(VALU_DEP_2)
	v_fma_f64 v[16:17], v[8:9], s[16:17], v[16:17]
	v_fma_f64 v[18:19], v[8:9], s[12:13], v[10:11]
	s_delay_alu instid0(VALU_DEP_2) | instskip(SKIP_2) | instid1(VALU_DEP_4)
	v_add_f64 v[8:9], v[4:5], v[16:17]
	v_add_f64 v[4:5], v[4:5], -v[16:17]
	v_fma_f64 v[16:17], v[68:69], s[18:19], v[50:51]
	v_add_f64 v[10:11], v[6:7], v[18:19]
	v_add_f64 v[6:7], v[6:7], -v[18:19]
	v_fma_f64 v[18:19], v[43:44], s[12:13], v[25:26]
	v_fma_f64 v[25:26], v[160:161], s[18:19], v[35:36]
	;; [unrolled: 1-line block ×3, first 2 shown]
	s_delay_alu instid0(VALU_DEP_3) | instskip(SKIP_1) | instid1(VALU_DEP_4)
	v_fma_f64 v[18:19], v[27:28], s[2:3], v[18:19]
	v_fma_f64 v[27:28], v[134:135], s[2:3], v[29:30]
	;; [unrolled: 1-line block ×3, first 2 shown]
	v_add_f64 v[29:30], v[212:213], -v[52:53]
	v_fma_f64 v[16:17], v[23:24], s[8:9], v[16:17]
	v_fma_f64 v[12:13], v[12:13], s[8:9], v[18:19]
	;; [unrolled: 1-line block ×4, first 2 shown]
	s_delay_alu instid0(VALU_DEP_4) | instskip(SKIP_1) | instid1(VALU_DEP_2)
	v_mul_f64 v[20:21], v[16:17], s[20:21]
	v_mul_f64 v[16:17], v[16:17], s[14:15]
	v_fma_f64 v[20:21], v[18:19], s[14:15], v[20:21]
	s_delay_alu instid0(VALU_DEP_2) | instskip(NEXT) | instid1(VALU_DEP_2)
	v_fma_f64 v[23:24], v[18:19], s[2:3], v[16:17]
	v_add_f64 v[16:17], v[12:13], v[20:21]
	s_delay_alu instid0(VALU_DEP_2)
	v_add_f64 v[18:19], v[14:15], v[23:24]
	v_add_f64 v[12:13], v[12:13], -v[20:21]
	v_add_f64 v[14:15], v[14:15], -v[23:24]
	ds_store_b128 v34, v[236:239]
	ds_store_b128 v34, v[240:243] offset:80
	ds_store_b128 v34, v[248:251] offset:16
	;; [unrolled: 1-line block ×9, first 2 shown]
	v_add_f64 v[0:1], v[212:213], -v[216:217]
	v_add_f64 v[2:3], v[52:53], -v[224:225]
	;; [unrolled: 1-line block ×9, first 2 shown]
	v_add_f64 v[0:1], v[2:3], v[0:1]
	v_add_f64 v[2:3], v[216:217], -v[212:213]
	s_delay_alu instid0(VALU_DEP_1) | instskip(SKIP_2) | instid1(VALU_DEP_1)
	v_add_f64 v[8:9], v[4:5], v[2:3]
	v_add_f64 v[2:3], v[214:215], -v[218:219]
	v_add_f64 v[4:5], v[54:55], -v[226:227]
	v_add_f64 v[2:3], v[4:5], v[2:3]
	v_add_f64 v[4:5], v[218:219], -v[214:215]
	s_delay_alu instid0(VALU_DEP_1) | instskip(SKIP_2) | instid1(VALU_DEP_1)
	v_add_f64 v[18:19], v[6:7], v[4:5]
	v_add_f64 v[4:5], v[220:221], -v[228:229]
	v_add_f64 v[6:7], v[56:57], -v[232:233]
	;; [unrolled: 6-line block ×3, first 2 shown]
	v_add_f64 v[6:7], v[10:11], v[6:7]
	v_add_f64 v[10:11], v[230:231], -v[222:223]
	s_delay_alu instid0(VALU_DEP_1) | instskip(SKIP_1) | instid1(VALU_DEP_1)
	v_add_f64 v[250:251], v[12:13], v[10:11]
	v_add_f64 v[10:11], v[228:229], v[232:233]
	v_fma_f64 v[12:13], v[10:11], -0.5, v[208:209]
	v_add_f64 v[10:11], v[230:231], v[234:235]
	s_delay_alu instid0(VALU_DEP_2) | instskip(NEXT) | instid1(VALU_DEP_2)
	v_fma_f64 v[23:24], v[246:247], s[18:19], v[12:13]
	v_fma_f64 v[16:17], v[10:11], -0.5, v[210:211]
	v_add_f64 v[10:11], v[228:229], -v[232:233]
	s_delay_alu instid0(VALU_DEP_2) | instskip(NEXT) | instid1(VALU_DEP_1)
	v_fma_f64 v[14:15], v[244:245], s[12:13], v[16:17]
	v_fma_f64 v[20:21], v[10:11], s[2:3], v[14:15]
	v_add_f64 v[14:15], v[230:231], -v[234:235]
	s_delay_alu instid0(VALU_DEP_2) | instskip(NEXT) | instid1(VALU_DEP_2)
	v_fma_f64 v[20:21], v[6:7], s[8:9], v[20:21]
	v_fma_f64 v[23:24], v[14:15], s[20:21], v[23:24]
	s_delay_alu instid0(VALU_DEP_2) | instskip(NEXT) | instid1(VALU_DEP_2)
	v_mul_f64 v[25:26], v[20:21], s[20:21]
	v_fma_f64 v[23:24], v[4:5], s[8:9], v[23:24]
	v_mul_f64 v[20:21], v[20:21], s[22:23]
	s_delay_alu instid0(VALU_DEP_2) | instskip(NEXT) | instid1(VALU_DEP_2)
	v_fma_f64 v[35:36], v[23:24], s[22:23], v[25:26]
	v_fma_f64 v[37:38], v[23:24], s[2:3], v[20:21]
	v_add_f64 v[20:21], v[58:59], v[222:223]
	s_delay_alu instid0(VALU_DEP_1) | instskip(SKIP_1) | instid1(VALU_DEP_1)
	v_fma_f64 v[33:34], v[20:21], -0.5, v[210:211]
	v_add_f64 v[20:21], v[56:57], v[220:221]
	v_fma_f64 v[31:32], v[20:21], -0.5, v[208:209]
	s_delay_alu instid0(VALU_DEP_3) | instskip(NEXT) | instid1(VALU_DEP_2)
	v_fma_f64 v[20:21], v[10:11], s[18:19], v[33:34]
	v_fma_f64 v[23:24], v[14:15], s[12:13], v[31:32]
	s_delay_alu instid0(VALU_DEP_2) | instskip(NEXT) | instid1(VALU_DEP_2)
	v_fma_f64 v[20:21], v[244:245], s[2:3], v[20:21]
	v_fma_f64 v[23:24], v[246:247], s[20:21], v[23:24]
	s_delay_alu instid0(VALU_DEP_2) | instskip(NEXT) | instid1(VALU_DEP_2)
	v_fma_f64 v[20:21], v[250:251], s[8:9], v[20:21]
	v_fma_f64 v[23:24], v[248:249], s[8:9], v[23:24]
	s_delay_alu instid0(VALU_DEP_2) | instskip(SKIP_1) | instid1(VALU_DEP_2)
	v_mul_f64 v[25:26], v[20:21], s[18:19]
	v_mul_f64 v[20:21], v[20:21], s[8:9]
	v_fma_f64 v[164:165], v[23:24], s[8:9], v[25:26]
	s_delay_alu instid0(VALU_DEP_2) | instskip(SKIP_2) | instid1(VALU_DEP_2)
	v_fma_f64 v[166:167], v[23:24], s[12:13], v[20:21]
	v_add_f64 v[20:21], v[224:225], v[216:217]
	v_add_f64 v[25:26], v[214:215], -v[54:55]
	v_fma_f64 v[252:253], v[20:21], -0.5, v[204:205]
	v_add_f64 v[20:21], v[52:53], v[212:213]
	s_delay_alu instid0(VALU_DEP_1) | instskip(SKIP_1) | instid1(VALU_DEP_2)
	v_fma_f64 v[160:161], v[20:21], -0.5, v[204:205]
	v_add_f64 v[20:21], v[226:227], v[218:219]
	v_fma_f64 v[27:28], v[254:255], s[12:13], v[160:161]
	s_delay_alu instid0(VALU_DEP_2) | instskip(SKIP_1) | instid1(VALU_DEP_3)
	v_fma_f64 v[23:24], v[20:21], -0.5, v[206:207]
	v_add_f64 v[20:21], v[54:55], v[214:215]
	v_fma_f64 v[41:42], v[25:26], s[20:21], v[27:28]
	v_add_f64 v[27:28], v[216:217], -v[224:225]
	s_delay_alu instid0(VALU_DEP_3) | instskip(SKIP_3) | instid1(VALU_DEP_4)
	v_fma_f64 v[162:163], v[20:21], -0.5, v[206:207]
	v_fma_f64 v[20:21], v[25:26], s[18:19], v[252:253]
	v_fma_f64 v[39:40], v[29:30], s[12:13], v[23:24]
	;; [unrolled: 1-line block ×4, first 2 shown]
	s_delay_alu instid0(VALU_DEP_4) | instskip(NEXT) | instid1(VALU_DEP_4)
	v_fma_f64 v[20:21], v[254:255], s[20:21], v[20:21]
	v_fma_f64 v[39:40], v[27:28], s[2:3], v[39:40]
	s_delay_alu instid0(VALU_DEP_4) | instskip(NEXT) | instid1(VALU_DEP_4)
	v_add_f64 v[240:241], v[41:42], -v[164:165]
	v_fma_f64 v[43:44], v[29:30], s[2:3], v[43:44]
	s_delay_alu instid0(VALU_DEP_4) | instskip(NEXT) | instid1(VALU_DEP_4)
	v_fma_f64 v[20:21], v[0:1], s[8:9], v[20:21]
	v_fma_f64 v[39:40], v[2:3], s[8:9], v[39:40]
	s_delay_alu instid0(VALU_DEP_3) | instskip(NEXT) | instid1(VALU_DEP_3)
	v_fma_f64 v[43:44], v[18:19], s[8:9], v[43:44]
	v_add_f64 v[236:237], v[20:21], -v[35:36]
	s_delay_alu instid0(VALU_DEP_3) | instskip(NEXT) | instid1(VALU_DEP_3)
	v_add_f64 v[238:239], v[39:40], -v[37:38]
	v_add_f64 v[242:243], v[43:44], -v[166:167]
	s_and_saveexec_b32 s1, vcc_lo
	s_cbranch_execz .LBB0_21
; %bb.20:
	v_add_f64 v[50:51], v[214:215], v[206:207]
	v_add_f64 v[62:63], v[222:223], v[210:211]
	;; [unrolled: 1-line block ×5, first 2 shown]
	v_mul_f64 v[20:21], v[10:11], s[12:13]
	v_add_f64 v[37:38], v[39:40], v[37:38]
	v_mul_f64 v[39:40], v[254:255], s[12:13]
	v_mul_f64 v[18:19], v[18:19], s[8:9]
	;; [unrolled: 1-line block ×8, first 2 shown]
	v_add_f64 v[43:44], v[43:44], v[166:167]
	v_add_f64 v[41:42], v[41:42], v[164:165]
	;; [unrolled: 1-line block ×7, first 2 shown]
	v_mul_f64 v[33:34], v[14:15], s[12:13]
	v_add_f64 v[39:40], v[160:161], -v[39:40]
	v_add_f64 v[50:51], v[226:227], v[50:51]
	v_add_f64 v[62:63], v[234:235], v[62:63]
	;; [unrolled: 1-line block ×4, first 2 shown]
	v_add_f64 v[31:32], v[31:32], -v[33:34]
	v_mul_f64 v[33:34], v[27:28], s[12:13]
	v_add_f64 v[54:55], v[54:55], v[50:51]
	v_add_f64 v[58:59], v[58:59], v[62:63]
	;; [unrolled: 1-line block ×5, first 2 shown]
	s_delay_alu instid0(VALU_DEP_4) | instskip(SKIP_4) | instid1(VALU_DEP_3)
	v_add_f64 v[52:53], v[54:55], -v[58:59]
	v_add_f64 v[56:57], v[58:59], v[54:55]
	v_mul_f64 v[58:59], v[244:245], s[2:3]
	v_add_f64 v[54:55], v[62:63], v[60:61]
	v_add_f64 v[50:51], v[60:61], -v[62:63]
	v_add_f64 v[20:21], v[20:21], -v[58:59]
	v_mul_f64 v[58:59], v[246:247], s[2:3]
	s_delay_alu instid0(VALU_DEP_1) | instskip(SKIP_1) | instid1(VALU_DEP_1)
	v_add_f64 v[31:32], v[58:59], v[31:32]
	v_mul_f64 v[58:59], v[29:30], s[2:3]
	v_add_f64 v[33:34], v[33:34], -v[58:59]
	v_mul_f64 v[58:59], v[25:26], s[2:3]
	s_delay_alu instid0(VALU_DEP_2) | instskip(NEXT) | instid1(VALU_DEP_2)
	v_add_f64 v[33:34], v[18:19], v[33:34]
	v_add_f64 v[39:40], v[58:59], v[39:40]
	v_mul_f64 v[58:59], v[250:251], s[8:9]
	s_delay_alu instid0(VALU_DEP_2) | instskip(NEXT) | instid1(VALU_DEP_2)
	v_add_f64 v[8:9], v[8:9], v[39:40]
	v_add_f64 v[20:21], v[58:59], v[20:21]
	v_mul_f64 v[58:59], v[248:249], s[8:9]
	s_delay_alu instid0(VALU_DEP_2) | instskip(NEXT) | instid1(VALU_DEP_2)
	v_mul_f64 v[18:19], v[20:21], s[16:17]
	v_add_f64 v[31:32], v[58:59], v[31:32]
	v_mul_f64 v[20:21], v[20:21], s[12:13]
	s_delay_alu instid0(VALU_DEP_2) | instskip(NEXT) | instid1(VALU_DEP_2)
	v_fma_f64 v[39:40], v[31:32], s[12:13], v[18:19]
	v_fma_f64 v[31:32], v[31:32], s[16:17], -v[20:21]
	s_delay_alu instid0(VALU_DEP_2) | instskip(NEXT) | instid1(VALU_DEP_2)
	v_add_f64 v[20:21], v[33:34], v[39:40]
	v_add_f64 v[18:19], v[8:9], v[31:32]
	v_add_f64 v[31:32], v[8:9], -v[31:32]
	v_mul_f64 v[8:9], v[244:245], s[12:13]
	v_add_f64 v[33:34], v[33:34], -v[39:40]
	s_delay_alu instid0(VALU_DEP_2) | instskip(SKIP_1) | instid1(VALU_DEP_2)
	v_add_f64 v[8:9], v[16:17], -v[8:9]
	v_mul_f64 v[16:17], v[246:247], s[12:13]
	v_add_f64 v[8:9], v[8:9], -v[10:11]
	s_delay_alu instid0(VALU_DEP_2) | instskip(SKIP_4) | instid1(VALU_DEP_4)
	v_add_f64 v[12:13], v[16:17], v[12:13]
	v_mul_f64 v[16:17], v[29:30], s[12:13]
	v_mul_f64 v[10:11], v[14:15], s[2:3]
	;; [unrolled: 1-line block ×3, first 2 shown]
	v_add_f64 v[6:7], v[6:7], v[8:9]
	v_add_f64 v[16:17], v[23:24], -v[16:17]
	v_mul_f64 v[23:24], v[25:26], s[12:13]
	v_add_f64 v[10:11], v[10:11], v[12:13]
	v_mul_f64 v[12:13], v[27:28], s[2:3]
	s_delay_alu instid0(VALU_DEP_3) | instskip(NEXT) | instid1(VALU_DEP_3)
	v_add_f64 v[23:24], v[23:24], v[252:253]
	v_add_f64 v[4:5], v[4:5], v[10:11]
	s_delay_alu instid0(VALU_DEP_3) | instskip(NEXT) | instid1(VALU_DEP_3)
	v_add_f64 v[12:13], v[16:17], -v[12:13]
	v_add_f64 v[14:15], v[14:15], v[23:24]
	s_delay_alu instid0(VALU_DEP_2) | instskip(SKIP_1) | instid1(VALU_DEP_3)
	v_add_f64 v[8:9], v[2:3], v[12:13]
	v_mul_f64 v[2:3], v[6:7], s[2:3]
	v_add_f64 v[10:11], v[0:1], v[14:15]
	v_mul_f64 v[0:1], v[6:7], s[14:15]
	s_delay_alu instid0(VALU_DEP_1) | instskip(NEXT) | instid1(VALU_DEP_4)
	v_fma_f64 v[6:7], v[4:5], s[2:3], v[0:1]
	v_fma_f64 v[4:5], v[4:5], s[14:15], -v[2:3]
	s_delay_alu instid0(VALU_DEP_2)
	v_add_f64 v[2:3], v[8:9], v[6:7]
	v_add_f64 v[6:7], v[8:9], -v[6:7]
	scratch_load_b32 v8, off, off offset:336 ; 4-byte Folded Reload
	v_add_f64 v[0:1], v[10:11], v[4:5]
	v_add_f64 v[4:5], v[10:11], -v[4:5]
	s_waitcnt vmcnt(0)
	v_lshlrev_b32_e32 v8, 4, v8
	ds_store_b128 v8, v[35:38] offset:16
	ds_store_b128 v8, v[236:239] offset:96
	;; [unrolled: 1-line block ×4, first 2 shown]
	ds_store_b128 v8, v[54:57]
	ds_store_b128 v8, v[50:53] offset:80
	ds_store_b128 v8, v[18:21] offset:48
	;; [unrolled: 1-line block ×5, first 2 shown]
.LBB0_21:
	s_or_b32 exec_lo, exec_lo, s1
	s_waitcnt lgkmcnt(0)
	s_barrier
	buffer_gl0_inv
	s_clause 0x3
	scratch_load_b128 v[6:9], off, off offset:244
	scratch_load_b128 v[18:21], off, off offset:260
	;; [unrolled: 1-line block ×4, first 2 shown]
	ds_load_b128 v[0:3], v132 offset:1440
	s_clause 0x2
	scratch_load_b128 v[23:26], off, off offset:276
	scratch_load_b128 v[27:30], off, off offset:292
	scratch_load_b128 v[31:34], off, off offset:308
	s_mov_b32 s2, 0x667f3bcd
	s_mov_b32 s3, 0xbfe6a09e
	;; [unrolled: 1-line block ×12, first 2 shown]
	s_waitcnt vmcnt(6) lgkmcnt(0)
	v_mul_f64 v[4:5], v[8:9], v[2:3]
	s_delay_alu instid0(VALU_DEP_1) | instskip(SKIP_1) | instid1(VALU_DEP_1)
	v_fma_f64 v[4:5], v[6:7], v[0:1], v[4:5]
	v_mul_f64 v[0:1], v[8:9], v[0:1]
	v_fma_f64 v[6:7], v[6:7], v[2:3], -v[0:1]
	ds_load_b128 v[0:3], v132 offset:2880
	s_waitcnt vmcnt(4) lgkmcnt(0)
	v_mul_f64 v[8:9], v[12:13], v[2:3]
	s_delay_alu instid0(VALU_DEP_1) | instskip(SKIP_1) | instid1(VALU_DEP_1)
	v_fma_f64 v[8:9], v[10:11], v[0:1], v[8:9]
	v_mul_f64 v[0:1], v[12:13], v[0:1]
	v_fma_f64 v[10:11], v[10:11], v[2:3], -v[0:1]
	ds_load_b128 v[0:3], v132 offset:4320
	;; [unrolled: 7-line block ×3, first 2 shown]
	s_waitcnt lgkmcnt(0)
	v_mul_f64 v[16:17], v[20:21], v[2:3]
	s_delay_alu instid0(VALU_DEP_1) | instskip(SKIP_1) | instid1(VALU_DEP_1)
	v_fma_f64 v[16:17], v[18:19], v[0:1], v[16:17]
	v_mul_f64 v[0:1], v[20:21], v[0:1]
	v_fma_f64 v[18:19], v[18:19], v[2:3], -v[0:1]
	ds_load_b128 v[0:3], v132 offset:7200
	s_waitcnt vmcnt(2) lgkmcnt(0)
	v_mul_f64 v[20:21], v[25:26], v[2:3]
	s_delay_alu instid0(VALU_DEP_1) | instskip(SKIP_1) | instid1(VALU_DEP_1)
	v_fma_f64 v[20:21], v[23:24], v[0:1], v[20:21]
	v_mul_f64 v[0:1], v[25:26], v[0:1]
	v_fma_f64 v[23:24], v[23:24], v[2:3], -v[0:1]
	ds_load_b128 v[0:3], v132 offset:8640
	s_waitcnt vmcnt(1) lgkmcnt(0)
	;; [unrolled: 7-line block ×3, first 2 shown]
	v_mul_f64 v[29:30], v[33:34], v[2:3]
	s_delay_alu instid0(VALU_DEP_1) | instskip(SKIP_1) | instid1(VALU_DEP_1)
	v_fma_f64 v[29:30], v[31:32], v[0:1], v[29:30]
	v_mul_f64 v[0:1], v[33:34], v[0:1]
	v_fma_f64 v[31:32], v[31:32], v[2:3], -v[0:1]
	ds_load_b128 v[0:3], v132 offset:11520
	s_waitcnt lgkmcnt(0)
	v_mul_f64 v[33:34], v[78:79], v[2:3]
	s_delay_alu instid0(VALU_DEP_1) | instskip(SKIP_1) | instid1(VALU_DEP_1)
	v_fma_f64 v[33:34], v[76:77], v[0:1], v[33:34]
	v_mul_f64 v[0:1], v[78:79], v[0:1]
	v_fma_f64 v[35:36], v[76:77], v[2:3], -v[0:1]
	ds_load_b128 v[0:3], v132 offset:17280
	s_waitcnt lgkmcnt(0)
	v_mul_f64 v[37:38], v[82:83], v[2:3]
	s_delay_alu instid0(VALU_DEP_1) | instskip(SKIP_1) | instid1(VALU_DEP_2)
	v_fma_f64 v[37:38], v[80:81], v[0:1], v[37:38]
	v_mul_f64 v[0:1], v[82:83], v[0:1]
	v_add_f64 v[37:38], v[16:17], -v[37:38]
	s_delay_alu instid0(VALU_DEP_2) | instskip(SKIP_4) | instid1(VALU_DEP_2)
	v_fma_f64 v[39:40], v[80:81], v[2:3], -v[0:1]
	ds_load_b128 v[0:3], v132 offset:14400
	s_waitcnt lgkmcnt(0)
	v_mul_f64 v[41:42], v[47:48], v[2:3]
	v_add_f64 v[39:40], v[18:19], -v[39:40]
	v_fma_f64 v[41:42], v[45:46], v[0:1], v[41:42]
	v_mul_f64 v[0:1], v[47:48], v[0:1]
	s_delay_alu instid0(VALU_DEP_2) | instskip(NEXT) | instid1(VALU_DEP_2)
	v_add_f64 v[70:71], v[8:9], -v[41:42]
	v_fma_f64 v[43:44], v[45:46], v[2:3], -v[0:1]
	ds_load_b128 v[0:3], v132 offset:20160
	s_waitcnt lgkmcnt(0)
	v_mul_f64 v[45:46], v[90:91], v[2:3]
	v_add_f64 v[72:73], v[10:11], -v[43:44]
	s_delay_alu instid0(VALU_DEP_2) | instskip(SKIP_1) | instid1(VALU_DEP_2)
	v_fma_f64 v[45:46], v[88:89], v[0:1], v[45:46]
	v_mul_f64 v[0:1], v[90:91], v[0:1]
	v_add_f64 v[41:42], v[25:26], -v[45:46]
	s_delay_alu instid0(VALU_DEP_2) | instskip(SKIP_4) | instid1(VALU_DEP_2)
	v_fma_f64 v[47:48], v[88:89], v[2:3], -v[0:1]
	ds_load_b128 v[0:3], v132 offset:12960
	s_waitcnt lgkmcnt(0)
	v_mul_f64 v[50:51], v[94:95], v[2:3]
	v_add_f64 v[43:44], v[27:28], -v[47:48]
	v_fma_f64 v[50:51], v[92:93], v[0:1], v[50:51]
	v_mul_f64 v[0:1], v[94:95], v[0:1]
	v_add_f64 v[94:95], v[72:73], -v[41:42]
	s_delay_alu instid0(VALU_DEP_3) | instskip(NEXT) | instid1(VALU_DEP_3)
	v_add_f64 v[45:46], v[4:5], -v[50:51]
	v_fma_f64 v[52:53], v[92:93], v[2:3], -v[0:1]
	ds_load_b128 v[0:3], v132 offset:18720
	v_add_f64 v[92:93], v[70:71], v[43:44]
	s_waitcnt lgkmcnt(0)
	v_mul_f64 v[54:55], v[98:99], v[2:3]
	v_add_f64 v[47:48], v[6:7], -v[52:53]
	s_delay_alu instid0(VALU_DEP_2) | instskip(SKIP_1) | instid1(VALU_DEP_2)
	v_fma_f64 v[54:55], v[96:97], v[0:1], v[54:55]
	v_mul_f64 v[0:1], v[98:99], v[0:1]
	v_add_f64 v[50:51], v[20:21], -v[54:55]
	s_delay_alu instid0(VALU_DEP_2) | instskip(SKIP_4) | instid1(VALU_DEP_2)
	v_fma_f64 v[56:57], v[96:97], v[2:3], -v[0:1]
	ds_load_b128 v[0:3], v132 offset:15840
	s_waitcnt lgkmcnt(0)
	v_mul_f64 v[58:59], v[102:103], v[2:3]
	v_add_f64 v[52:53], v[23:24], -v[56:57]
	v_fma_f64 v[58:59], v[100:101], v[0:1], v[58:59]
	v_mul_f64 v[0:1], v[102:103], v[0:1]
	s_delay_alu instid0(VALU_DEP_2) | instskip(NEXT) | instid1(VALU_DEP_2)
	v_add_f64 v[54:55], v[12:13], -v[58:59]
	v_fma_f64 v[60:61], v[100:101], v[2:3], -v[0:1]
	ds_load_b128 v[0:3], v132 offset:21600
	s_waitcnt lgkmcnt(0)
	v_mul_f64 v[62:63], v[106:107], v[0:1]
	v_add_f64 v[56:57], v[14:15], -v[60:61]
	s_delay_alu instid0(VALU_DEP_2) | instskip(SKIP_1) | instid1(VALU_DEP_2)
	v_fma_f64 v[62:63], v[104:105], v[2:3], -v[62:63]
	v_mul_f64 v[2:3], v[106:107], v[2:3]
	v_add_f64 v[58:59], v[31:32], -v[62:63]
	s_delay_alu instid0(VALU_DEP_2)
	v_fma_f64 v[64:65], v[104:105], v[0:1], v[2:3]
	ds_load_b128 v[0:3], v132
	s_waitcnt lgkmcnt(0)
	s_barrier
	buffer_gl0_inv
	v_add_f64 v[33:34], v[0:1], -v[33:34]
	v_add_f64 v[35:36], v[2:3], -v[35:36]
	v_add_f64 v[60:61], v[29:30], -v[64:65]
	s_delay_alu instid0(VALU_DEP_3) | instskip(NEXT) | instid1(VALU_DEP_3)
	v_fma_f64 v[66:67], v[0:1], 2.0, -v[33:34]
	v_fma_f64 v[68:69], v[2:3], 2.0, -v[35:36]
	;; [unrolled: 1-line block ×15, first 2 shown]
	v_add_f64 v[90:91], v[33:34], v[39:40]
	v_add_f64 v[37:38], v[35:36], -v[37:38]
	v_fma_f64 v[14:15], v[29:30], 2.0, -v[60:61]
	v_add_f64 v[52:53], v[45:46], v[52:53]
	v_add_f64 v[58:59], v[54:55], v[58:59]
	v_add_f64 v[50:51], v[47:48], -v[50:51]
	v_add_f64 v[60:61], v[56:57], -v[60:61]
	;; [unrolled: 1-line block ×11, first 2 shown]
	v_add_f64 v[12:13], v[29:30], v[64:65]
	v_fma_f64 v[27:28], v[27:28], 2.0, -v[76:77]
	v_add_f64 v[4:5], v[74:75], v[78:79]
	v_add_f64 v[6:7], v[76:77], -v[80:81]
	v_fma_f64 v[88:89], v[31:32], 2.0, -v[14:15]
	v_fma_f64 v[82:83], v[29:30], 2.0, -v[12:13]
	;; [unrolled: 1-line block ×4, first 2 shown]
	v_fma_f64 v[0:1], v[4:5], s[8:9], v[12:13]
	v_fma_f64 v[8:9], v[74:75], 2.0, -v[4:5]
	v_fma_f64 v[2:3], v[6:7], s[8:9], v[14:15]
	s_delay_alu instid0(VALU_DEP_3) | instskip(NEXT) | instid1(VALU_DEP_2)
	v_fma_f64 v[0:1], v[6:7], s[8:9], v[0:1]
	v_fma_f64 v[2:3], v[4:5], s[2:3], v[2:3]
	v_fma_f64 v[4:5], v[76:77], 2.0, -v[6:7]
	v_fma_f64 v[6:7], v[8:9], s[2:3], v[82:83]
	s_delay_alu instid0(VALU_DEP_4) | instskip(NEXT) | instid1(VALU_DEP_4)
	v_fma_f64 v[12:13], v[12:13], 2.0, -v[0:1]
	v_fma_f64 v[14:15], v[14:15], 2.0, -v[2:3]
	s_delay_alu instid0(VALU_DEP_4)
	v_fma_f64 v[10:11], v[4:5], s[2:3], v[88:89]
	ds_store_b128 v49, v[0:3] offset:2240
	v_fma_f64 v[0:1], v[16:17], 2.0, -v[62:63]
	v_fma_f64 v[2:3], v[18:19], 2.0, -v[64:65]
	;; [unrolled: 1-line block ×5, first 2 shown]
	v_fma_f64 v[4:5], v[4:5], s[8:9], v[6:7]
	v_fma_f64 v[25:26], v[35:36], 2.0, -v[37:38]
	v_fma_f64 v[35:36], v[72:73], 2.0, -v[94:95]
	;; [unrolled: 1-line block ×4, first 2 shown]
	v_fma_f64 v[6:7], v[8:9], s[2:3], v[10:11]
	v_fma_f64 v[8:9], v[92:93], s[8:9], v[90:91]
	v_add_f64 v[20:21], v[29:30], -v[0:1]
	v_add_f64 v[64:65], v[31:32], -v[2:3]
	v_fma_f64 v[10:11], v[60:61], s[8:9], v[50:51]
	v_add_f64 v[66:67], v[27:28], -v[16:17]
	v_add_f64 v[68:69], v[62:63], -v[18:19]
	ds_store_b128 v49, v[12:15] offset:960
	ds_store_b128 v49, v[4:7] offset:1600
	v_fma_f64 v[96:97], v[94:95], s[8:9], v[8:9]
	v_fma_f64 v[8:9], v[94:95], s[8:9], v[37:38]
	;; [unrolled: 1-line block ×3, first 2 shown]
	v_add_f64 v[0:1], v[20:21], v[66:67]
	v_add_f64 v[2:3], v[64:65], -v[68:69]
	v_fma_f64 v[102:103], v[90:91], 2.0, -v[96:97]
	v_fma_f64 v[98:99], v[92:93], s[2:3], v[8:9]
	v_fma_f64 v[8:9], v[58:59], s[8:9], v[52:53]
	v_fma_f64 v[16:17], v[20:21], 2.0, -v[0:1]
	v_fma_f64 v[18:19], v[64:65], 2.0, -v[2:3]
	ds_store_b128 v49, v[0:3] offset:1920
	v_fma_f64 v[0:1], v[45:46], 2.0, -v[52:53]
	v_fma_f64 v[2:3], v[54:55], 2.0, -v[58:59]
	;; [unrolled: 1-line block ×5, first 2 shown]
	v_fma_f64 v[8:9], v[60:61], s[8:9], v[8:9]
	v_fma_f64 v[42:43], v[10:11], s[18:19], v[98:99]
	;; [unrolled: 1-line block ×3, first 2 shown]
	s_delay_alu instid0(VALU_DEP_3) | instskip(NEXT) | instid1(VALU_DEP_3)
	v_fma_f64 v[39:40], v[8:9], s[18:19], v[96:97]
	v_fma_f64 v[42:43], v[8:9], s[16:17], v[42:43]
	v_fma_f64 v[100:101], v[52:53], 2.0, -v[8:9]
	v_fma_f64 v[8:9], v[50:51], 2.0, -v[10:11]
	v_fma_f64 v[46:47], v[44:45], s[8:9], v[46:47]
	v_fma_f64 v[44:45], v[44:45], s[2:3], v[37:38]
	;; [unrolled: 1-line block ×3, first 2 shown]
	v_fma_f64 v[14:15], v[98:99], 2.0, -v[42:43]
	v_fma_f64 v[10:11], v[100:101], s[16:17], v[102:103]
	v_fma_f64 v[106:107], v[8:9], s[16:17], v[104:105]
	;; [unrolled: 1-line block ×4, first 2 shown]
	v_fma_f64 v[12:13], v[96:97], 2.0, -v[40:41]
	v_fma_f64 v[8:9], v[8:9], s[18:19], v[10:11]
	v_fma_f64 v[10:11], v[100:101], s[12:13], v[106:107]
	v_fma_f64 v[37:38], v[37:38], 2.0, -v[44:45]
	v_fma_f64 v[50:51], v[33:34], s[2:3], v[2:3]
	v_fma_f64 v[2:3], v[33:34], s[2:3], v[23:24]
	ds_store_b128 v49, v[12:15] offset:1120
	v_fma_f64 v[12:13], v[82:83], 2.0, -v[4:5]
	v_fma_f64 v[14:15], v[88:89], 2.0, -v[6:7]
	ds_store_b128 v49, v[8:11] offset:1760
	v_fma_f64 v[4:5], v[102:103], 2.0, -v[8:9]
	v_fma_f64 v[6:7], v[104:105], 2.0, -v[10:11]
	v_fma_f64 v[33:34], v[35:36], s[8:9], v[2:3]
	v_fma_f64 v[35:36], v[0:1], 2.0, -v[46:47]
	v_fma_f64 v[0:1], v[44:45], s[14:15], v[50:51]
	s_delay_alu instid0(VALU_DEP_3) | instskip(NEXT) | instid1(VALU_DEP_2)
	v_fma_f64 v[52:53], v[46:47], s[14:15], v[33:34]
	v_fma_f64 v[2:3], v[46:47], s[12:13], v[0:1]
	v_fma_f64 v[46:47], v[25:26], 2.0, -v[50:51]
	s_delay_alu instid0(VALU_DEP_3) | instskip(SKIP_1) | instid1(VALU_DEP_4)
	v_fma_f64 v[0:1], v[44:45], s[18:19], v[52:53]
	v_fma_f64 v[44:45], v[23:24], 2.0, -v[33:34]
	v_fma_f64 v[10:11], v[50:51], 2.0, -v[2:3]
	ds_store_b128 v49, v[0:3] offset:2080
	ds_store_b128 v49, v[16:19] offset:640
	v_fma_f64 v[8:9], v[33:34], 2.0, -v[0:1]
	v_fma_f64 v[16:17], v[29:30], 2.0, -v[20:21]
	;; [unrolled: 1-line block ×5, first 2 shown]
	v_fma_f64 v[23:24], v[35:36], s[12:13], v[44:45]
	v_fma_f64 v[25:26], v[37:38], s[12:13], v[46:47]
	s_delay_alu instid0(VALU_DEP_4) | instskip(NEXT) | instid1(VALU_DEP_4)
	v_add_f64 v[0:1], v[16:17], -v[0:1]
	v_add_f64 v[2:3], v[18:19], -v[2:3]
	s_delay_alu instid0(VALU_DEP_4) | instskip(NEXT) | instid1(VALU_DEP_4)
	v_fma_f64 v[23:24], v[37:38], s[14:15], v[23:24]
	v_fma_f64 v[25:26], v[35:36], s[16:17], v[25:26]
	s_delay_alu instid0(VALU_DEP_4) | instskip(NEXT) | instid1(VALU_DEP_4)
	v_fma_f64 v[16:17], v[16:17], 2.0, -v[0:1]
	v_fma_f64 v[18:19], v[18:19], 2.0, -v[2:3]
	s_delay_alu instid0(VALU_DEP_4) | instskip(NEXT) | instid1(VALU_DEP_4)
	v_fma_f64 v[27:28], v[44:45], 2.0, -v[23:24]
	v_fma_f64 v[29:30], v[46:47], 2.0, -v[25:26]
	ds_store_b128 v49, v[40:43] offset:2400
	ds_store_b128 v49, v[0:3] offset:1280
	;; [unrolled: 1-line block ×6, first 2 shown]
	ds_store_b128 v49, v[16:19]
	ds_store_b128 v49, v[27:30] offset:160
	s_waitcnt lgkmcnt(0)
	s_barrier
	buffer_gl0_inv
	ds_load_b128 v[4:7], v132
	ds_load_b128 v[0:3], v132 offset:1440
	ds_load_b128 v[56:59], v132 offset:15360
	;; [unrolled: 1-line block ×14, first 2 shown]
	s_and_saveexec_b32 s1, s0
	s_cbranch_execz .LBB0_23
; %bb.22:
	ds_load_b128 v[40:43], v132 offset:7200
	ds_load_b128 v[236:239], v132 offset:14880
	;; [unrolled: 1-line block ×3, first 2 shown]
.LBB0_23:
	s_or_b32 exec_lo, exec_lo, s1
	s_waitcnt lgkmcnt(4)
	v_mul_f64 v[20:21], v[110:111], v[82:83]
	v_mul_f64 v[23:24], v[110:111], v[80:81]
	;; [unrolled: 1-line block ×12, first 2 shown]
	s_waitcnt lgkmcnt(2)
	v_mul_f64 v[94:95], v[86:87], v[78:79]
	s_waitcnt lgkmcnt(1)
	v_mul_f64 v[102:103], v[142:143], v[72:73]
	v_mul_f64 v[86:87], v[86:87], v[76:77]
	;; [unrolled: 1-line block ×5, first 2 shown]
	s_waitcnt lgkmcnt(0)
	v_mul_f64 v[104:105], v[146:147], v[62:63]
	v_mul_f64 v[106:107], v[146:147], v[60:61]
	;; [unrolled: 1-line block ×5, first 2 shown]
	s_mov_b32 s2, 0xe8584caa
	s_mov_b32 s3, 0xbfebb67a
	;; [unrolled: 1-line block ×4, first 2 shown]
	s_barrier
	buffer_gl0_inv
	v_mul_f64 v[118:119], v[154:155], v[242:243]
	v_fma_f64 v[20:21], v[108:109], v[80:81], v[20:21]
	v_fma_f64 v[23:24], v[108:109], v[82:83], -v[23:24]
	v_fma_f64 v[25:26], v[116:117], v[56:57], v[25:26]
	v_fma_f64 v[27:28], v[116:117], v[58:59], -v[27:28]
	;; [unrolled: 2-line block ×7, first 2 shown]
	v_fma_f64 v[56:57], v[84:85], v[78:79], -v[86:87]
	v_fma_f64 v[52:53], v[136:137], v[52:53], v[96:97]
	v_fma_f64 v[54:55], v[136:137], v[54:55], -v[98:99]
	v_fma_f64 v[58:59], v[140:141], v[72:73], v[100:101]
	v_fma_f64 v[60:61], v[144:145], v[60:61], v[104:105]
	v_fma_f64 v[62:63], v[144:145], v[62:63], -v[106:107]
	v_fma_f64 v[72:73], v[152:153], v[242:243], -v[122:123]
	v_fma_f64 v[66:67], v[148:149], v[236:237], v[110:111]
	v_fma_f64 v[68:69], v[148:149], v[238:239], -v[114:115]
	v_fma_f64 v[70:71], v[152:153], v[240:241], v[118:119]
	v_add_f64 v[98:99], v[4:5], v[20:21]
	v_add_f64 v[74:75], v[20:21], v[25:26]
	v_add_f64 v[76:77], v[23:24], v[27:28]
	v_add_f64 v[100:101], v[23:24], -v[27:28]
	v_add_f64 v[23:24], v[6:7], v[23:24]
	v_add_f64 v[78:79], v[29:30], v[33:34]
	v_add_f64 v[80:81], v[31:32], v[35:36]
	v_add_f64 v[20:21], v[20:21], -v[25:26]
	v_add_f64 v[104:105], v[2:3], v[31:32]
	v_add_f64 v[82:83], v[37:38], v[46:47]
	v_add_f64 v[84:85], v[44:45], v[48:49]
	v_add_f64 v[122:123], v[31:32], -v[35:36]
	v_add_f64 v[102:103], v[0:1], v[29:30]
	v_add_f64 v[106:107], v[16:17], v[37:38]
	;; [unrolled: 1-line block ×9, first 2 shown]
	v_add_f64 v[44:45], v[44:45], -v[48:49]
	v_add_f64 v[124:125], v[37:38], -v[46:47]
	v_add_f64 v[114:115], v[12:13], v[58:59]
	v_add_f64 v[116:117], v[14:15], v[64:65]
	v_add_f64 v[126:127], v[56:57], -v[54:55]
	v_add_f64 v[50:51], v[50:51], -v[52:53]
	;; [unrolled: 1-line block ×4, first 2 shown]
	v_add_f64 v[94:95], v[66:67], v[70:71]
	v_add_f64 v[118:119], v[40:41], v[66:67]
	v_add_f64 v[136:137], v[66:67], -v[70:71]
	v_add_f64 v[96:97], v[68:69], v[72:73]
	v_add_f64 v[120:121], v[42:43], v[68:69]
	v_add_f64 v[134:135], v[68:69], -v[72:73]
	v_fma_f64 v[74:75], v[74:75], -0.5, v[4:5]
	v_fma_f64 v[31:32], v[76:77], -0.5, v[6:7]
	v_add_f64 v[76:77], v[29:30], -v[33:34]
	v_fma_f64 v[78:79], v[78:79], -0.5, v[0:1]
	v_fma_f64 v[80:81], v[80:81], -0.5, v[2:3]
	v_add_f64 v[0:1], v[98:99], v[25:26]
	v_add_f64 v[2:3], v[23:24], v[27:28]
	v_fma_f64 v[82:83], v[82:83], -0.5, v[16:17]
	v_fma_f64 v[84:85], v[84:85], -0.5, v[18:19]
	v_add_f64 v[6:7], v[104:105], v[35:36]
	v_add_f64 v[4:5], v[102:103], v[33:34]
	;; [unrolled: 4-line block ×4, first 2 shown]
	v_add_f64 v[16:17], v[114:115], v[60:61]
	v_add_f64 v[18:19], v[116:117], v[62:63]
	v_fma_f64 v[94:95], v[94:95], -0.5, v[40:41]
	v_add_f64 v[40:41], v[118:119], v[70:71]
	v_fma_f64 v[96:97], v[96:97], -0.5, v[42:43]
	v_add_f64 v[42:43], v[120:121], v[72:73]
	v_fma_f64 v[23:24], v[100:101], s[2:3], v[74:75]
	v_fma_f64 v[25:26], v[20:21], s[8:9], v[31:32]
	;; [unrolled: 1-line block ×12, first 2 shown]
	ds_store_b128 v132, v[0:3]
	ds_store_b128 v132, v[23:26] offset:2560
	ds_store_b128 v132, v[27:30] offset:5120
	ds_store_b128 v133, v[4:7]
	ds_store_b128 v133, v[31:34] offset:2560
	ds_store_b128 v133, v[35:38] offset:5120
	;; [unrolled: 1-line block ×5, first 2 shown]
	scratch_load_b32 v0, off, off offset:332 ; 4-byte Folded Reload
	v_fma_f64 v[60:61], v[126:127], s[2:3], v[86:87]
	v_fma_f64 v[62:63], v[50:51], s[8:9], v[88:89]
	;; [unrolled: 1-line block ×12, first 2 shown]
	s_waitcnt vmcnt(0)
	ds_store_b128 v0, v[12:15]
	ds_store_b128 v0, v[60:63] offset:2560
	ds_store_b128 v0, v[64:67] offset:5120
	scratch_load_b32 v0, off, off offset:328 ; 4-byte Folded Reload
	s_waitcnt vmcnt(0)
	ds_store_b128 v0, v[16:19] offset:15360
	ds_store_b128 v0, v[68:71] offset:17920
	;; [unrolled: 1-line block ×3, first 2 shown]
	s_and_saveexec_b32 s1, s0
	s_cbranch_execz .LBB0_25
; %bb.24:
	scratch_load_b32 v0, off, off offset:324 ; 4-byte Folded Reload
	s_waitcnt vmcnt(0)
	v_lshlrev_b32_e32 v0, 4, v0
	ds_store_b128 v0, v[40:43] offset:15360
	ds_store_b128 v0, v[44:47] offset:17920
	;; [unrolled: 1-line block ×3, first 2 shown]
.LBB0_25:
	s_or_b32 exec_lo, exec_lo, s1
	s_waitcnt lgkmcnt(0)
	s_barrier
	buffer_gl0_inv
	ds_load_b128 v[4:7], v132
	ds_load_b128 v[0:3], v132 offset:1440
	ds_load_b128 v[64:67], v132 offset:15360
	;; [unrolled: 1-line block ×14, first 2 shown]
	s_and_saveexec_b32 s1, s0
	s_cbranch_execz .LBB0_27
; %bb.26:
	ds_load_b128 v[40:43], v132 offset:7200
	ds_load_b128 v[44:47], v132 offset:14880
	;; [unrolled: 1-line block ×3, first 2 shown]
.LBB0_27:
	s_or_b32 exec_lo, exec_lo, s1
	s_waitcnt lgkmcnt(4)
	v_mul_f64 v[20:21], v[158:159], v[90:91]
	v_mul_f64 v[23:24], v[170:171], v[66:67]
	;; [unrolled: 1-line block ×12, first 2 shown]
	s_waitcnt lgkmcnt(2)
	v_mul_f64 v[98:99], v[190:191], v[86:87]
	v_mul_f64 v[100:101], v[194:195], v[62:63]
	;; [unrolled: 1-line block ×4, first 2 shown]
	s_waitcnt lgkmcnt(1)
	v_mul_f64 v[106:107], v[198:199], v[74:75]
	s_waitcnt lgkmcnt(0)
	v_mul_f64 v[108:109], v[202:203], v[78:79]
	v_mul_f64 v[110:111], v[198:199], v[72:73]
	v_mul_f64 v[112:113], v[202:203], v[76:77]
	s_mov_b32 s8, s2
	v_fma_f64 v[20:21], v[156:157], v[88:89], v[20:21]
	v_fma_f64 v[23:24], v[168:169], v[64:65], v[23:24]
	v_fma_f64 v[25:26], v[156:157], v[90:91], -v[25:26]
	v_fma_f64 v[27:28], v[168:169], v[66:67], -v[27:28]
	v_fma_f64 v[29:30], v[172:173], v[68:69], v[29:30]
	v_fma_f64 v[31:32], v[176:177], v[52:53], v[31:32]
	v_fma_f64 v[33:34], v[172:173], v[70:71], -v[33:34]
	v_fma_f64 v[35:36], v[176:177], v[54:55], -v[35:36]
	;; [unrolled: 4-line block ×5, first 2 shown]
	v_add_f64 v[94:95], v[4:5], v[20:21]
	v_add_f64 v[74:75], v[20:21], v[23:24]
	v_add_f64 v[20:21], v[20:21], -v[23:24]
	v_add_f64 v[76:77], v[25:26], v[27:28]
	v_add_f64 v[96:97], v[25:26], -v[27:28]
	v_add_f64 v[78:79], v[29:30], v[31:32]
	v_add_f64 v[25:26], v[6:7], v[25:26]
	;; [unrolled: 1-line block ×15, first 2 shown]
	v_add_f64 v[33:34], v[33:34], -v[35:36]
	v_add_f64 v[114:115], v[29:30], -v[31:32]
	;; [unrolled: 1-line block ×6, first 2 shown]
	v_add_f64 v[110:111], v[12:13], v[66:67]
	v_add_f64 v[112:113], v[14:15], v[70:71]
	v_add_f64 v[70:71], v[70:71], -v[72:73]
	v_add_f64 v[120:121], v[66:67], -v[68:69]
	v_fma_f64 v[74:75], v[74:75], -0.5, v[4:5]
	v_fma_f64 v[76:77], v[76:77], -0.5, v[6:7]
	;; [unrolled: 1-line block ×3, first 2 shown]
	v_add_f64 v[0:1], v[94:95], v[23:24]
	v_fma_f64 v[80:81], v[80:81], -0.5, v[2:3]
	v_add_f64 v[2:3], v[25:26], v[27:28]
	v_fma_f64 v[82:83], v[82:83], -0.5, v[16:17]
	;; [unrolled: 2-line block ×7, first 2 shown]
	v_add_f64 v[14:15], v[108:109], v[62:63]
	v_add_f64 v[16:17], v[110:111], v[68:69]
	;; [unrolled: 1-line block ×3, first 2 shown]
	v_fma_f64 v[27:28], v[96:97], s[8:9], v[74:75]
	v_fma_f64 v[23:24], v[96:97], s[2:3], v[74:75]
	;; [unrolled: 1-line block ×20, first 2 shown]
	ds_store_b128 v132, v[0:3]
	ds_store_b128 v132, v[4:7] offset:1440
	ds_store_b128 v132, v[8:11] offset:2880
	;; [unrolled: 1-line block ×14, first 2 shown]
	s_and_saveexec_b32 s1, s0
	s_cbranch_execz .LBB0_29
; %bb.28:
	s_clause 0x1
	scratch_load_b128 v[8:11], off, off offset:340
	scratch_load_b128 v[12:15], off, off offset:356
	s_waitcnt vmcnt(1)
	v_mul_f64 v[0:1], v[10:11], v[44:45]
	s_waitcnt vmcnt(0)
	v_mul_f64 v[2:3], v[14:15], v[48:49]
	v_mul_f64 v[4:5], v[10:11], v[46:47]
	v_mul_f64 v[6:7], v[14:15], v[50:51]
	s_delay_alu instid0(VALU_DEP_4) | instskip(NEXT) | instid1(VALU_DEP_4)
	v_fma_f64 v[0:1], v[8:9], v[46:47], -v[0:1]
	v_fma_f64 v[2:3], v[12:13], v[50:51], -v[2:3]
	s_delay_alu instid0(VALU_DEP_4) | instskip(NEXT) | instid1(VALU_DEP_4)
	v_fma_f64 v[4:5], v[8:9], v[44:45], v[4:5]
	v_fma_f64 v[6:7], v[12:13], v[48:49], v[6:7]
	s_delay_alu instid0(VALU_DEP_4) | instskip(NEXT) | instid1(VALU_DEP_4)
	v_add_f64 v[14:15], v[42:43], v[0:1]
	v_add_f64 v[8:9], v[0:1], v[2:3]
	v_add_f64 v[16:17], v[0:1], -v[2:3]
	s_delay_alu instid0(VALU_DEP_4)
	v_add_f64 v[10:11], v[4:5], v[6:7]
	v_add_f64 v[12:13], v[4:5], -v[6:7]
	v_add_f64 v[4:5], v[40:41], v[4:5]
	v_add_f64 v[2:3], v[14:15], v[2:3]
	v_fma_f64 v[8:9], v[8:9], -0.5, v[42:43]
	v_fma_f64 v[18:19], v[10:11], -0.5, v[40:41]
	s_delay_alu instid0(VALU_DEP_4) | instskip(NEXT) | instid1(VALU_DEP_3)
	v_add_f64 v[0:1], v[4:5], v[6:7]
	v_fma_f64 v[6:7], v[12:13], s[2:3], v[8:9]
	v_fma_f64 v[10:11], v[12:13], s[8:9], v[8:9]
	s_delay_alu instid0(VALU_DEP_4)
	v_fma_f64 v[8:9], v[16:17], s[2:3], v[18:19]
	v_fma_f64 v[4:5], v[16:17], s[8:9], v[18:19]
	ds_store_b128 v132, v[0:3] offset:7200
	ds_store_b128 v132, v[8:11] offset:14880
	;; [unrolled: 1-line block ×3, first 2 shown]
.LBB0_29:
	s_or_b32 exec_lo, exec_lo, s1
	s_waitcnt lgkmcnt(0)
	s_barrier
	buffer_gl0_inv
	ds_load_b128 v[0:3], v132
	ds_load_b128 v[4:7], v132 offset:2304
	ds_load_b128 v[8:11], v132 offset:4608
	;; [unrolled: 1-line block ×4, first 2 shown]
	scratch_load_b64 v[20:21], off, off offset:16 ; 8-byte Folded Reload
	ds_load_b128 v[23:26], v132 offset:11520
	ds_load_b128 v[27:30], v132 offset:13824
	;; [unrolled: 1-line block ×3, first 2 shown]
	s_clause 0x5
	scratch_load_b128 v[103:106], off, off offset:132
	scratch_load_b128 v[97:100], off, off offset:100
	;; [unrolled: 1-line block ×6, first 2 shown]
	v_mad_u64_u32 v[59:60], null, s4, v22, 0
	s_mul_i32 s1, s5, 0x90
	s_mul_i32 s0, s4, 0x90
	s_mov_b32 s2, 0x16c16c17
	s_mov_b32 s3, 0x3f46c16c
	ds_load_b128 v[35:38], v132 offset:18432
	ds_load_b128 v[39:42], v132 offset:20736
	s_waitcnt vmcnt(6)
	v_mov_b32_e32 v71, v20
	s_waitcnt vmcnt(5) lgkmcnt(7)
	v_mul_f64 v[51:52], v[105:106], v[10:11]
	v_mul_f64 v[53:54], v[105:106], v[8:9]
	scratch_load_b128 v[105:108], off, off offset:148 ; 16-byte Folded Reload
	v_mad_u64_u32 v[20:21], null, s6, v71, 0
	s_waitcnt vmcnt(4)
	v_mul_f64 v[43:44], v[93:94], v[2:3]
	s_waitcnt lgkmcnt(3)
	v_mul_f64 v[72:73], v[99:100], v[27:28]
	v_mul_f64 v[45:46], v[93:94], v[0:1]
	scratch_load_b128 v[93:96], off, off offset:84 ; 16-byte Folded Reload
	s_waitcnt vmcnt(4)
	v_mul_f64 v[47:48], v[89:90], v[6:7]
	v_mul_f64 v[49:50], v[89:90], v[4:5]
	v_mad_u64_u32 v[69:70], null, s7, v71, v[21:22]
	v_mul_f64 v[70:71], v[99:100], v[29:30]
	scratch_load_b128 v[99:102], off, off offset:116 ; 16-byte Folded Reload
	s_waitcnt vmcnt(3)
	v_mul_f64 v[55:56], v[117:118], v[14:15]
	v_mul_f64 v[57:58], v[117:118], v[12:13]
	s_mul_hi_u32 s6, s4, 0x90
	s_delay_alu instid0(SALU_CYCLE_1) | instskip(NEXT) | instid1(SALU_CYCLE_1)
	s_add_i32 s1, s6, s1
	s_lshl_b64 s[6:7], s[0:1], 4
	v_fma_f64 v[0:1], v[91:92], v[0:1], v[43:44]
	v_fma_f64 v[43:44], v[91:92], v[2:3], -v[45:46]
	v_fma_f64 v[45:46], v[87:88], v[4:5], v[47:48]
	v_fma_f64 v[47:48], v[87:88], v[6:7], -v[49:50]
	;; [unrolled: 2-line block ×4, first 2 shown]
	v_mul_f64 v[4:5], v[43:44], s[2:3]
	v_mul_f64 v[6:7], v[45:46], s[2:3]
	;; [unrolled: 1-line block ×6, first 2 shown]
	s_waitcnt vmcnt(2)
	v_mul_f64 v[65:66], v[107:108], v[25:26]
	v_mul_f64 v[67:68], v[107:108], v[23:24]
	scratch_load_b128 v[107:110], off, off offset:164 ; 16-byte Folded Reload
	v_mul_f64 v[61:62], v[113:114], v[18:19]
	v_mul_f64 v[63:64], v[113:114], v[16:17]
	s_waitcnt vmcnt(1) lgkmcnt(0)
	v_mul_f64 v[83:84], v[101:102], v[41:42]
	v_mul_f64 v[85:86], v[101:102], v[39:40]
	s_delay_alu instid0(VALU_DEP_4)
	v_mad_u64_u32 v[80:81], null, s5, v22, v[60:61]
	v_mov_b32_e32 v21, v69
	v_fma_f64 v[57:58], v[111:112], v[16:17], v[61:62]
	v_fma_f64 v[22:23], v[105:106], v[23:24], v[65:66]
	v_fma_f64 v[24:25], v[105:106], v[25:26], -v[67:68]
	v_fma_f64 v[26:27], v[97:98], v[27:28], v[70:71]
	v_fma_f64 v[28:29], v[97:98], v[29:30], -v[72:73]
	v_mov_b32_e32 v60, v80
	v_lshlrev_b64 v[20:21], 4, v[20:21]
	v_mul_f64 v[16:17], v[55:56], s[2:3]
	s_delay_alu instid0(VALU_DEP_3) | instskip(SKIP_1) | instid1(VALU_DEP_4)
	v_lshlrev_b64 v[2:3], 4, v[59:60]
	v_fma_f64 v[59:60], v[111:112], v[18:19], -v[63:64]
	v_add_co_u32 v69, s0, s10, v20
	s_delay_alu instid0(VALU_DEP_1) | instskip(NEXT) | instid1(VALU_DEP_2)
	v_add_co_ci_u32_e64 v80, s0, s11, v21, s0
	v_add_co_u32 v61, s0, v69, v2
	s_delay_alu instid0(VALU_DEP_1)
	v_add_co_ci_u32_e64 v62, s0, v80, v3, s0
	v_mul_f64 v[2:3], v[0:1], s[2:3]
	scratch_load_b32 v1, off, off offset:48 ; 4-byte Folded Reload
	v_mul_f64 v[78:79], v[95:96], v[37:38]
	v_mul_f64 v[81:82], v[95:96], v[35:36]
	v_add_co_u32 v63, s0, v61, s6
	s_delay_alu instid0(VALU_DEP_1) | instskip(SKIP_4) | instid1(VALU_DEP_1)
	v_add_co_ci_u32_e64 v64, s0, s7, v62, s0
	s_clause 0x1
	global_store_b128 v[61:62], v[2:5], off
	global_store_b128 v[63:64], v[6:9], off
	v_add_co_u32 v65, s0, v63, s6
	v_add_co_ci_u32_e64 v66, s0, s7, v64, s0
	v_mul_f64 v[22:23], v[22:23], s[2:3]
	v_mul_f64 v[24:25], v[24:25], s[2:3]
	v_mul_f64 v[26:27], v[26:27], s[2:3]
	v_mul_f64 v[28:29], v[28:29], s[2:3]
	v_mul_f64 v[18:19], v[57:58], s[2:3]
	v_mul_f64 v[20:21], v[59:60], s[2:3]
	s_waitcnt vmcnt(1)
	v_mul_f64 v[74:75], v[109:110], v[33:34]
	v_mul_f64 v[76:77], v[109:110], v[31:32]
	s_delay_alu instid0(VALU_DEP_2) | instskip(NEXT) | instid1(VALU_DEP_2)
	v_fma_f64 v[30:31], v[107:108], v[31:32], v[74:75]
	v_fma_f64 v[32:33], v[107:108], v[33:34], -v[76:77]
	v_fma_f64 v[34:35], v[93:94], v[35:36], v[78:79]
	v_fma_f64 v[36:37], v[93:94], v[37:38], -v[81:82]
	;; [unrolled: 2-line block ×3, first 2 shown]
	v_add_co_u32 v42, s0, v65, s6
	s_delay_alu instid0(VALU_DEP_1) | instskip(NEXT) | instid1(VALU_DEP_2)
	v_add_co_ci_u32_e64 v43, s0, s7, v66, s0
	v_add_co_u32 v44, s0, v42, s6
	s_delay_alu instid0(VALU_DEP_1)
	v_add_co_ci_u32_e64 v45, s0, s7, v43, s0
	s_clause 0x2
	global_store_b128 v[65:66], v[10:13], off
	global_store_b128 v[42:43], v[14:17], off
	;; [unrolled: 1-line block ×3, first 2 shown]
	v_add_co_u32 v46, s0, v44, s6
	s_delay_alu instid0(VALU_DEP_1) | instskip(NEXT) | instid1(VALU_DEP_2)
	v_add_co_ci_u32_e64 v47, s0, s7, v45, s0
	v_add_co_u32 v50, s0, v46, s6
	s_delay_alu instid0(VALU_DEP_1) | instskip(SKIP_2) | instid1(VALU_DEP_3)
	v_add_co_ci_u32_e64 v51, s0, s7, v47, s0
	s_waitcnt vmcnt(0)
	v_mad_u64_u32 v[48:49], null, s4, v1, 0
	v_add_co_u32 v52, s0, v50, s6
	s_delay_alu instid0(VALU_DEP_1) | instskip(NEXT) | instid1(VALU_DEP_3)
	v_add_co_ci_u32_e64 v53, s0, s7, v51, s0
	v_mov_b32_e32 v0, v49
	v_mul_f64 v[30:31], v[30:31], s[2:3]
	v_mul_f64 v[32:33], v[32:33], s[2:3]
	;; [unrolled: 1-line block ×6, first 2 shown]
	v_mad_u64_u32 v[54:55], null, s5, v1, v[0:1]
	v_mad_u64_u32 v[0:1], null, 0x1200, s4, v[52:53]
	s_delay_alu instid0(VALU_DEP_2) | instskip(NEXT) | instid1(VALU_DEP_1)
	v_mov_b32_e32 v49, v54
	v_lshlrev_b64 v[2:3], 4, v[48:49]
	s_delay_alu instid0(VALU_DEP_1) | instskip(SKIP_1) | instid1(VALU_DEP_1)
	v_mad_u64_u32 v[4:5], null, 0x1200, s5, v[1:2]
	v_add_co_u32 v2, s0, v69, v2
	v_add_co_ci_u32_e64 v3, s0, v80, v3, s0
	s_delay_alu instid0(VALU_DEP_3)
	v_mov_b32_e32 v1, v4
	global_store_b128 v[46:47], v[22:25], off
	global_store_b128 v[50:51], v[26:29], off
	;; [unrolled: 1-line block ×5, first 2 shown]
	s_and_b32 exec_lo, exec_lo, vcc_lo
	s_cbranch_execz .LBB0_31
; %bb.30:
	scratch_load_b64 v[16:17], off, off     ; 8-byte Folded Reload
	s_mul_i32 s0, s5, 0xffffb4a0
	s_delay_alu instid0(SALU_CYCLE_1)
	s_sub_i32 s0, s0, s4
	s_waitcnt vmcnt(0)
	global_load_b128 v[2:5], v[16:17], off offset:1440
	ds_load_b128 v[6:9], v132 offset:1440
	ds_load_b128 v[10:13], v132 offset:3744
	s_waitcnt vmcnt(0) lgkmcnt(1)
	v_mul_f64 v[14:15], v[8:9], v[4:5]
	v_mul_f64 v[4:5], v[6:7], v[4:5]
	s_delay_alu instid0(VALU_DEP_2) | instskip(NEXT) | instid1(VALU_DEP_2)
	v_fma_f64 v[6:7], v[6:7], v[2:3], v[14:15]
	v_fma_f64 v[4:5], v[2:3], v[8:9], -v[4:5]
	s_delay_alu instid0(VALU_DEP_2) | instskip(NEXT) | instid1(VALU_DEP_2)
	v_mul_f64 v[2:3], v[6:7], s[2:3]
	v_mul_f64 v[4:5], v[4:5], s[2:3]
	v_mad_u64_u32 v[6:7], null, 0xffffb4a0, s4, v[0:1]
	s_delay_alu instid0(VALU_DEP_1)
	v_add_nc_u32_e32 v7, s0, v7
	global_store_b128 v[6:7], v[2:5], off
	global_load_b128 v[0:3], v[16:17], off offset:3744
	s_waitcnt vmcnt(0) lgkmcnt(0)
	v_mul_f64 v[4:5], v[12:13], v[2:3]
	v_mul_f64 v[2:3], v[10:11], v[2:3]
	s_delay_alu instid0(VALU_DEP_2) | instskip(NEXT) | instid1(VALU_DEP_2)
	v_fma_f64 v[4:5], v[10:11], v[0:1], v[4:5]
	v_fma_f64 v[2:3], v[0:1], v[12:13], -v[2:3]
	v_add_co_u32 v12, vcc_lo, v6, s6
	v_add_co_ci_u32_e32 v13, vcc_lo, s7, v7, vcc_lo
	s_delay_alu instid0(VALU_DEP_4) | instskip(NEXT) | instid1(VALU_DEP_4)
	v_mul_f64 v[0:1], v[4:5], s[2:3]
	v_mul_f64 v[2:3], v[2:3], s[2:3]
	global_store_b128 v[12:13], v[0:3], off
	scratch_load_b64 v[0:1], off, off offset:40 ; 8-byte Folded Reload
	s_waitcnt vmcnt(0)
	global_load_b128 v[0:3], v[0:1], off offset:1952
	ds_load_b128 v[4:7], v132 offset:6048
	ds_load_b128 v[8:11], v132 offset:8352
	s_waitcnt vmcnt(0) lgkmcnt(1)
	v_mul_f64 v[14:15], v[6:7], v[2:3]
	v_mul_f64 v[2:3], v[4:5], v[2:3]
	s_delay_alu instid0(VALU_DEP_2) | instskip(SKIP_4) | instid1(VALU_DEP_3)
	v_fma_f64 v[4:5], v[4:5], v[0:1], v[14:15]
	scratch_load_b64 v[14:15], off, off offset:32 ; 8-byte Folded Reload
	v_fma_f64 v[2:3], v[0:1], v[6:7], -v[2:3]
	v_mul_f64 v[0:1], v[4:5], s[2:3]
	v_add_co_u32 v4, vcc_lo, v12, s6
	v_mul_f64 v[2:3], v[2:3], s[2:3]
	v_add_co_ci_u32_e32 v5, vcc_lo, s7, v13, vcc_lo
	s_delay_alu instid0(VALU_DEP_3) | instskip(NEXT) | instid1(VALU_DEP_2)
	v_add_co_u32 v12, vcc_lo, v4, s6
	v_add_co_ci_u32_e32 v13, vcc_lo, s7, v5, vcc_lo
	global_store_b128 v[4:5], v[0:3], off
	s_waitcnt vmcnt(0)
	global_load_b128 v[0:3], v[14:15], off offset:160
	s_waitcnt vmcnt(0) lgkmcnt(0)
	v_mul_f64 v[6:7], v[10:11], v[2:3]
	v_mul_f64 v[2:3], v[8:9], v[2:3]
	s_delay_alu instid0(VALU_DEP_2) | instskip(NEXT) | instid1(VALU_DEP_2)
	v_fma_f64 v[6:7], v[8:9], v[0:1], v[6:7]
	v_fma_f64 v[2:3], v[0:1], v[10:11], -v[2:3]
	s_delay_alu instid0(VALU_DEP_2) | instskip(NEXT) | instid1(VALU_DEP_2)
	v_mul_f64 v[0:1], v[6:7], s[2:3]
	v_mul_f64 v[2:3], v[2:3], s[2:3]
	global_store_b128 v[12:13], v[0:3], off
	global_load_b128 v[0:3], v[14:15], off offset:2464
	ds_load_b128 v[4:7], v132 offset:10656
	ds_load_b128 v[8:11], v132 offset:12960
	s_waitcnt vmcnt(0) lgkmcnt(1)
	v_mul_f64 v[14:15], v[6:7], v[2:3]
	v_mul_f64 v[2:3], v[4:5], v[2:3]
	s_delay_alu instid0(VALU_DEP_2) | instskip(SKIP_4) | instid1(VALU_DEP_3)
	v_fma_f64 v[4:5], v[4:5], v[0:1], v[14:15]
	scratch_load_b64 v[14:15], off, off offset:24 ; 8-byte Folded Reload
	v_fma_f64 v[2:3], v[0:1], v[6:7], -v[2:3]
	v_mul_f64 v[0:1], v[4:5], s[2:3]
	v_add_co_u32 v4, vcc_lo, v12, s6
	v_mul_f64 v[2:3], v[2:3], s[2:3]
	v_add_co_ci_u32_e32 v5, vcc_lo, s7, v13, vcc_lo
	s_delay_alu instid0(VALU_DEP_3) | instskip(NEXT) | instid1(VALU_DEP_2)
	v_add_co_u32 v12, vcc_lo, v4, s6
	v_add_co_ci_u32_e32 v13, vcc_lo, s7, v5, vcc_lo
	global_store_b128 v[4:5], v[0:3], off
	s_waitcnt vmcnt(0)
	global_load_b128 v[0:3], v[14:15], off offset:672
	s_waitcnt vmcnt(0) lgkmcnt(0)
	v_mul_f64 v[6:7], v[10:11], v[2:3]
	v_mul_f64 v[2:3], v[8:9], v[2:3]
	s_delay_alu instid0(VALU_DEP_2) | instskip(NEXT) | instid1(VALU_DEP_2)
	v_fma_f64 v[6:7], v[8:9], v[0:1], v[6:7]
	v_fma_f64 v[2:3], v[0:1], v[10:11], -v[2:3]
	s_delay_alu instid0(VALU_DEP_2) | instskip(NEXT) | instid1(VALU_DEP_2)
	v_mul_f64 v[0:1], v[6:7], s[2:3]
	v_mul_f64 v[2:3], v[2:3], s[2:3]
	global_store_b128 v[12:13], v[0:3], off
	global_load_b128 v[0:3], v[14:15], off offset:2976
	ds_load_b128 v[4:7], v132 offset:15264
	ds_load_b128 v[8:11], v132 offset:17568
	s_waitcnt vmcnt(0) lgkmcnt(1)
	v_mul_f64 v[14:15], v[6:7], v[2:3]
	v_mul_f64 v[2:3], v[4:5], v[2:3]
	s_delay_alu instid0(VALU_DEP_2) | instskip(NEXT) | instid1(VALU_DEP_2)
	v_fma_f64 v[4:5], v[4:5], v[0:1], v[14:15]
	v_fma_f64 v[2:3], v[0:1], v[6:7], -v[2:3]
	s_delay_alu instid0(VALU_DEP_2) | instskip(NEXT) | instid1(VALU_DEP_2)
	v_mul_f64 v[0:1], v[4:5], s[2:3]
	v_mul_f64 v[2:3], v[2:3], s[2:3]
	v_add_co_u32 v4, vcc_lo, v12, s6
	v_add_co_ci_u32_e32 v5, vcc_lo, s7, v13, vcc_lo
	v_add_co_u32 v6, vcc_lo, 0x4000, v16
	v_add_co_ci_u32_e32 v7, vcc_lo, 0, v17, vcc_lo
	global_store_b128 v[4:5], v[0:3], off
	global_load_b128 v[0:3], v[6:7], off offset:1184
	s_waitcnt vmcnt(0) lgkmcnt(0)
	v_mul_f64 v[12:13], v[10:11], v[2:3]
	v_mul_f64 v[2:3], v[8:9], v[2:3]
	s_delay_alu instid0(VALU_DEP_2) | instskip(NEXT) | instid1(VALU_DEP_2)
	v_fma_f64 v[8:9], v[8:9], v[0:1], v[12:13]
	v_fma_f64 v[2:3], v[0:1], v[10:11], -v[2:3]
	v_add_co_u32 v12, vcc_lo, v4, s6
	v_add_co_ci_u32_e32 v13, vcc_lo, s7, v5, vcc_lo
	s_delay_alu instid0(VALU_DEP_4) | instskip(NEXT) | instid1(VALU_DEP_4)
	v_mul_f64 v[0:1], v[8:9], s[2:3]
	v_mul_f64 v[2:3], v[2:3], s[2:3]
	global_store_b128 v[12:13], v[0:3], off
	global_load_b128 v[0:3], v[6:7], off offset:3488
	ds_load_b128 v[4:7], v132 offset:19872
	ds_load_b128 v[8:11], v132 offset:22176
	s_waitcnt vmcnt(0) lgkmcnt(1)
	v_mul_f64 v[14:15], v[6:7], v[2:3]
	v_mul_f64 v[2:3], v[4:5], v[2:3]
	s_delay_alu instid0(VALU_DEP_2) | instskip(NEXT) | instid1(VALU_DEP_2)
	v_fma_f64 v[4:5], v[4:5], v[0:1], v[14:15]
	v_fma_f64 v[2:3], v[0:1], v[6:7], -v[2:3]
	s_delay_alu instid0(VALU_DEP_2) | instskip(NEXT) | instid1(VALU_DEP_2)
	v_mul_f64 v[0:1], v[4:5], s[2:3]
	v_mul_f64 v[2:3], v[2:3], s[2:3]
	v_add_co_u32 v4, vcc_lo, v12, s6
	v_add_co_ci_u32_e32 v5, vcc_lo, s7, v13, vcc_lo
	global_store_b128 v[4:5], v[0:3], off
	scratch_load_b64 v[0:1], off, off offset:8 ; 8-byte Folded Reload
	v_add_co_u32 v4, vcc_lo, v4, s6
	v_add_co_ci_u32_e32 v5, vcc_lo, s7, v5, vcc_lo
	s_waitcnt vmcnt(0)
	global_load_b128 v[0:3], v[0:1], off offset:1696
	s_waitcnt vmcnt(0) lgkmcnt(0)
	v_mul_f64 v[6:7], v[10:11], v[2:3]
	v_mul_f64 v[2:3], v[8:9], v[2:3]
	s_delay_alu instid0(VALU_DEP_2) | instskip(NEXT) | instid1(VALU_DEP_2)
	v_fma_f64 v[6:7], v[8:9], v[0:1], v[6:7]
	v_fma_f64 v[2:3], v[0:1], v[10:11], -v[2:3]
	s_delay_alu instid0(VALU_DEP_2) | instskip(NEXT) | instid1(VALU_DEP_2)
	v_mul_f64 v[0:1], v[6:7], s[2:3]
	v_mul_f64 v[2:3], v[2:3], s[2:3]
	global_store_b128 v[4:5], v[0:3], off
.LBB0_31:
	s_nop 0
	s_sendmsg sendmsg(MSG_DEALLOC_VGPRS)
	s_endpgm
	.section	.rodata,"a",@progbits
	.p2align	6, 0x0
	.amdhsa_kernel bluestein_single_back_len1440_dim1_dp_op_CI_CI
		.amdhsa_group_segment_fixed_size 23040
		.amdhsa_private_segment_fixed_size 376
		.amdhsa_kernarg_size 104
		.amdhsa_user_sgpr_count 15
		.amdhsa_user_sgpr_dispatch_ptr 0
		.amdhsa_user_sgpr_queue_ptr 0
		.amdhsa_user_sgpr_kernarg_segment_ptr 1
		.amdhsa_user_sgpr_dispatch_id 0
		.amdhsa_user_sgpr_private_segment_size 0
		.amdhsa_wavefront_size32 1
		.amdhsa_uses_dynamic_stack 0
		.amdhsa_enable_private_segment 1
		.amdhsa_system_sgpr_workgroup_id_x 1
		.amdhsa_system_sgpr_workgroup_id_y 0
		.amdhsa_system_sgpr_workgroup_id_z 0
		.amdhsa_system_sgpr_workgroup_info 0
		.amdhsa_system_vgpr_workitem_id 0
		.amdhsa_next_free_vgpr 256
		.amdhsa_next_free_sgpr 24
		.amdhsa_reserve_vcc 1
		.amdhsa_float_round_mode_32 0
		.amdhsa_float_round_mode_16_64 0
		.amdhsa_float_denorm_mode_32 3
		.amdhsa_float_denorm_mode_16_64 3
		.amdhsa_dx10_clamp 1
		.amdhsa_ieee_mode 1
		.amdhsa_fp16_overflow 0
		.amdhsa_workgroup_processor_mode 1
		.amdhsa_memory_ordered 1
		.amdhsa_forward_progress 0
		.amdhsa_shared_vgpr_count 0
		.amdhsa_exception_fp_ieee_invalid_op 0
		.amdhsa_exception_fp_denorm_src 0
		.amdhsa_exception_fp_ieee_div_zero 0
		.amdhsa_exception_fp_ieee_overflow 0
		.amdhsa_exception_fp_ieee_underflow 0
		.amdhsa_exception_fp_ieee_inexact 0
		.amdhsa_exception_int_div_zero 0
	.end_amdhsa_kernel
	.text
.Lfunc_end0:
	.size	bluestein_single_back_len1440_dim1_dp_op_CI_CI, .Lfunc_end0-bluestein_single_back_len1440_dim1_dp_op_CI_CI
                                        ; -- End function
	.section	.AMDGPU.csdata,"",@progbits
; Kernel info:
; codeLenInByte = 24448
; NumSgprs: 26
; NumVgprs: 256
; ScratchSize: 376
; MemoryBound: 0
; FloatMode: 240
; IeeeMode: 1
; LDSByteSize: 23040 bytes/workgroup (compile time only)
; SGPRBlocks: 3
; VGPRBlocks: 31
; NumSGPRsForWavesPerEU: 26
; NumVGPRsForWavesPerEU: 256
; Occupancy: 4
; WaveLimiterHint : 1
; COMPUTE_PGM_RSRC2:SCRATCH_EN: 1
; COMPUTE_PGM_RSRC2:USER_SGPR: 15
; COMPUTE_PGM_RSRC2:TRAP_HANDLER: 0
; COMPUTE_PGM_RSRC2:TGID_X_EN: 1
; COMPUTE_PGM_RSRC2:TGID_Y_EN: 0
; COMPUTE_PGM_RSRC2:TGID_Z_EN: 0
; COMPUTE_PGM_RSRC2:TIDIG_COMP_CNT: 0
	.text
	.p2alignl 7, 3214868480
	.fill 96, 4, 3214868480
	.type	__hip_cuid_739cc16b2cab98bd,@object ; @__hip_cuid_739cc16b2cab98bd
	.section	.bss,"aw",@nobits
	.globl	__hip_cuid_739cc16b2cab98bd
__hip_cuid_739cc16b2cab98bd:
	.byte	0                               ; 0x0
	.size	__hip_cuid_739cc16b2cab98bd, 1

	.ident	"AMD clang version 19.0.0git (https://github.com/RadeonOpenCompute/llvm-project roc-6.4.0 25133 c7fe45cf4b819c5991fe208aaa96edf142730f1d)"
	.section	".note.GNU-stack","",@progbits
	.addrsig
	.addrsig_sym __hip_cuid_739cc16b2cab98bd
	.amdgpu_metadata
---
amdhsa.kernels:
  - .args:
      - .actual_access:  read_only
        .address_space:  global
        .offset:         0
        .size:           8
        .value_kind:     global_buffer
      - .actual_access:  read_only
        .address_space:  global
        .offset:         8
        .size:           8
        .value_kind:     global_buffer
      - .actual_access:  read_only
        .address_space:  global
        .offset:         16
        .size:           8
        .value_kind:     global_buffer
      - .actual_access:  read_only
        .address_space:  global
        .offset:         24
        .size:           8
        .value_kind:     global_buffer
      - .actual_access:  read_only
        .address_space:  global
        .offset:         32
        .size:           8
        .value_kind:     global_buffer
      - .offset:         40
        .size:           8
        .value_kind:     by_value
      - .address_space:  global
        .offset:         48
        .size:           8
        .value_kind:     global_buffer
      - .address_space:  global
        .offset:         56
        .size:           8
        .value_kind:     global_buffer
      - .address_space:  global
        .offset:         64
        .size:           8
        .value_kind:     global_buffer
      - .address_space:  global
        .offset:         72
        .size:           8
        .value_kind:     global_buffer
      - .offset:         80
        .size:           4
        .value_kind:     by_value
      - .address_space:  global
        .offset:         88
        .size:           8
        .value_kind:     global_buffer
      - .address_space:  global
        .offset:         96
        .size:           8
        .value_kind:     global_buffer
    .group_segment_fixed_size: 23040
    .kernarg_segment_align: 8
    .kernarg_segment_size: 104
    .language:       OpenCL C
    .language_version:
      - 2
      - 0
    .max_flat_workgroup_size: 90
    .name:           bluestein_single_back_len1440_dim1_dp_op_CI_CI
    .private_segment_fixed_size: 376
    .sgpr_count:     26
    .sgpr_spill_count: 0
    .symbol:         bluestein_single_back_len1440_dim1_dp_op_CI_CI.kd
    .uniform_work_group_size: 1
    .uses_dynamic_stack: false
    .vgpr_count:     256
    .vgpr_spill_count: 93
    .wavefront_size: 32
    .workgroup_processor_mode: 1
amdhsa.target:   amdgcn-amd-amdhsa--gfx1100
amdhsa.version:
  - 1
  - 2
...

	.end_amdgpu_metadata
